;; amdgpu-corpus repo=triton-lang/triton kind=triton arch=gfx1100 opt=O3 lang=triton
	.amdgcn_target "amdgcn-amd-amdhsa--gfx1100"
	.amdhsa_code_object_version 5
	.text
	.globl	attention_fwd_kernel            ; -- Begin function attention_fwd_kernel
	.p2align	8
	.type	attention_fwd_kernel,@function
attention_fwd_kernel:                   ; @attention_fwd_kernel
.Lfunc_begin0:
	.file	1 "/root/src/amdgpu-assembly/repos/triton-lang__triton-aot" "attention_fwd.py"
	.loc	1 8 0                           ; attention_fwd.py:8:0
	.cfi_sections .debug_frame
	.cfi_startproc
; %bb.0:
	s_clause 0x2
	s_load_b64 s[6:7], s[0:1], 0x24
	s_load_b32 s100, s[0:1], 0x44
	s_load_b64 s[4:5], s[0:1], 0x0
	v_dual_mov_b32 v4, 0 :: v_dual_and_b32 v3, 63, v0
.Ltmp0:
	.loc	1 17 46 prologue_end            ; attention_fwd.py:17:46
	v_lshrrev_b32_e32 v99, 6, v0
	.loc	1 17 23 is_stmt 0               ; attention_fwd.py:17:23
	s_lshl_b32 s41, s15, 6
	v_mov_b32_e32 v32, 0
	s_mov_b64 s[42:43], s[0:1]
	.loc	1 21 16 is_stmt 1               ; attention_fwd.py:21:16
	s_mov_b32 s0, exec_lo
	.loc	1 17 33                         ; attention_fwd.py:17:33
	v_or_b32_e32 v5, s41, v99
	.loc	1 20 65                         ; attention_fwd.py:20:65
	s_waitcnt lgkmcnt(0)
	v_mul_lo_u32 v1, s7, v3
	s_delay_alu instid0(VALU_DEP_1) | instskip(NEXT) | instid1(VALU_DEP_3)
	.loc	1 20 47 is_stmt 0               ; attention_fwd.py:20:47
	v_ashrrev_i32_e32 v2, 31, v1
	.loc	1 21 47 is_stmt 1               ; attention_fwd.py:21:47
	v_cmpx_gt_i32_e64 s100, v5
	.loc	1 21 16 is_stmt 0               ; attention_fwd.py:21:16
	s_cbranch_execz .LBB0_2
; %bb.1:
	.loc	1 0 16                          ; attention_fwd.py:0:16
	v_mul_lo_u32 v5, s6, v5
	s_delay_alu instid0(VALU_DEP_3) | instskip(NEXT) | instid1(VALU_DEP_2)
	v_lshlrev_b64 v[7:8], 1, v[1:2]
	v_ashrrev_i32_e32 v6, 31, v5
	s_delay_alu instid0(VALU_DEP_1) | instskip(NEXT) | instid1(VALU_DEP_1)
	v_lshlrev_b64 v[5:6], 1, v[5:6]
	v_add_co_u32 v5, vcc_lo, s4, v5
	s_delay_alu instid0(VALU_DEP_1) | instskip(NEXT) | instid1(VALU_DEP_2)
	v_add_co_ci_u32_e64 v6, null, s5, v6, vcc_lo
	v_add_co_u32 v5, vcc_lo, v5, v7
	s_delay_alu instid0(VALU_DEP_1)
	v_add_co_ci_u32_e64 v6, null, v6, v8, vcc_lo
	.loc	1 21 16                         ; attention_fwd.py:21:16
	global_load_u16 v32, v[5:6], off
.LBB0_2:
	.loc	1 0 16                          ; attention_fwd.py:0:16
	s_or_b32 exec_lo, exec_lo, s0
	.loc	1 17 46 is_stmt 1               ; attention_fwd.py:17:46
	v_or_b32_e32 v5, 2, v99
	.loc	1 21 16                         ; attention_fwd.py:21:16
	s_mov_b32 s0, exec_lo
	s_delay_alu instid0(VALU_DEP_1) | instskip(NEXT) | instid1(VALU_DEP_1)
	.loc	1 17 33                         ; attention_fwd.py:17:33
	v_or_b32_e32 v6, s41, v5
	.loc	1 21 47                         ; attention_fwd.py:21:47
	v_cmpx_gt_i32_e64 s100, v6
	.loc	1 21 16 is_stmt 0               ; attention_fwd.py:21:16
	s_cbranch_execz .LBB0_4
; %bb.3:
	.loc	1 20 35 is_stmt 1               ; attention_fwd.py:20:35
	v_mul_lo_u32 v6, s6, v6
	.loc	1 20 47 is_stmt 0               ; attention_fwd.py:20:47
	v_lshlrev_b64 v[8:9], 1, v[1:2]
	s_delay_alu instid0(VALU_DEP_2) | instskip(NEXT) | instid1(VALU_DEP_1)
	.loc	1 20 17                         ; attention_fwd.py:20:17
	v_ashrrev_i32_e32 v7, 31, v6
	v_lshlrev_b64 v[6:7], 1, v[6:7]
	s_delay_alu instid0(VALU_DEP_1) | instskip(NEXT) | instid1(VALU_DEP_1)
	v_add_co_u32 v4, vcc_lo, s4, v6
	v_add_co_ci_u32_e64 v7, null, s5, v7, vcc_lo
	s_delay_alu instid0(VALU_DEP_2) | instskip(NEXT) | instid1(VALU_DEP_1)
	.loc	1 20 47                         ; attention_fwd.py:20:47
	v_add_co_u32 v6, vcc_lo, v4, v8
	v_add_co_ci_u32_e64 v7, null, v7, v9, vcc_lo
	.loc	1 21 16 is_stmt 1               ; attention_fwd.py:21:16
	global_load_u16 v4, v[6:7], off
.LBB0_4:
	.loc	1 0 16 is_stmt 0                ; attention_fwd.py:0:16
	s_or_b32 exec_lo, exec_lo, s0
	.loc	1 17 46 is_stmt 1               ; attention_fwd.py:17:46
	v_or_b32_e32 v6, 4, v99
	v_dual_mov_b32 v33, 0 :: v_dual_mov_b32 v34, 0
	.loc	1 21 16                         ; attention_fwd.py:21:16
	s_mov_b32 s0, exec_lo
	s_delay_alu instid0(VALU_DEP_2) | instskip(NEXT) | instid1(VALU_DEP_1)
	.loc	1 17 33                         ; attention_fwd.py:17:33
	v_or_b32_e32 v7, s41, v6
	.loc	1 21 47                         ; attention_fwd.py:21:47
	v_cmpx_gt_i32_e64 s100, v7
	.loc	1 21 16 is_stmt 0               ; attention_fwd.py:21:16
	s_cbranch_execz .LBB0_6
; %bb.5:
	.loc	1 20 35 is_stmt 1               ; attention_fwd.py:20:35
	v_mul_lo_u32 v7, s6, v7
	.loc	1 20 47 is_stmt 0               ; attention_fwd.py:20:47
	v_lshlrev_b64 v[9:10], 1, v[1:2]
	s_delay_alu instid0(VALU_DEP_2) | instskip(NEXT) | instid1(VALU_DEP_1)
	.loc	1 20 17                         ; attention_fwd.py:20:17
	v_ashrrev_i32_e32 v8, 31, v7
	v_lshlrev_b64 v[7:8], 1, v[7:8]
	s_delay_alu instid0(VALU_DEP_1) | instskip(NEXT) | instid1(VALU_DEP_1)
	v_add_co_u32 v7, vcc_lo, s4, v7
	v_add_co_ci_u32_e64 v8, null, s5, v8, vcc_lo
	s_delay_alu instid0(VALU_DEP_2) | instskip(NEXT) | instid1(VALU_DEP_1)
	.loc	1 20 47                         ; attention_fwd.py:20:47
	v_add_co_u32 v7, vcc_lo, v7, v9
	v_add_co_ci_u32_e64 v8, null, v8, v10, vcc_lo
	.loc	1 21 16 is_stmt 1               ; attention_fwd.py:21:16
	global_load_u16 v34, v[7:8], off
.LBB0_6:
	.loc	1 0 16 is_stmt 0                ; attention_fwd.py:0:16
	s_or_b32 exec_lo, exec_lo, s0
	.loc	1 17 46 is_stmt 1               ; attention_fwd.py:17:46
	v_or_b32_e32 v7, 6, v99
	.loc	1 21 16                         ; attention_fwd.py:21:16
	s_mov_b32 s0, exec_lo
	s_delay_alu instid0(VALU_DEP_1) | instskip(NEXT) | instid1(VALU_DEP_1)
	.loc	1 17 33                         ; attention_fwd.py:17:33
	v_or_b32_e32 v8, s41, v7
	.loc	1 21 47                         ; attention_fwd.py:21:47
	v_cmpx_gt_i32_e64 s100, v8
	.loc	1 21 16 is_stmt 0               ; attention_fwd.py:21:16
	s_cbranch_execz .LBB0_8
; %bb.7:
	.loc	1 20 35 is_stmt 1               ; attention_fwd.py:20:35
	v_mul_lo_u32 v8, s6, v8
	.loc	1 20 47 is_stmt 0               ; attention_fwd.py:20:47
	v_lshlrev_b64 v[10:11], 1, v[1:2]
	s_delay_alu instid0(VALU_DEP_2) | instskip(NEXT) | instid1(VALU_DEP_1)
	.loc	1 20 17                         ; attention_fwd.py:20:17
	v_ashrrev_i32_e32 v9, 31, v8
	v_lshlrev_b64 v[8:9], 1, v[8:9]
	s_delay_alu instid0(VALU_DEP_1) | instskip(NEXT) | instid1(VALU_DEP_1)
	v_add_co_u32 v8, vcc_lo, s4, v8
	v_add_co_ci_u32_e64 v9, null, s5, v9, vcc_lo
	s_delay_alu instid0(VALU_DEP_2) | instskip(NEXT) | instid1(VALU_DEP_1)
	.loc	1 20 47                         ; attention_fwd.py:20:47
	v_add_co_u32 v8, vcc_lo, v8, v10
	v_add_co_ci_u32_e64 v9, null, v9, v11, vcc_lo
	.loc	1 21 16 is_stmt 1               ; attention_fwd.py:21:16
	global_load_u16 v33, v[8:9], off
.LBB0_8:
	.loc	1 0 16 is_stmt 0                ; attention_fwd.py:0:16
	s_or_b32 exec_lo, exec_lo, s0
	.loc	1 17 46 is_stmt 1               ; attention_fwd.py:17:46
	v_or_b32_e32 v8, 8, v99
	v_dual_mov_b32 v35, 0 :: v_dual_mov_b32 v36, 0
	.loc	1 21 16                         ; attention_fwd.py:21:16
	s_mov_b32 s0, exec_lo
	s_delay_alu instid0(VALU_DEP_2) | instskip(NEXT) | instid1(VALU_DEP_1)
	.loc	1 17 33                         ; attention_fwd.py:17:33
	v_or_b32_e32 v9, s41, v8
	.loc	1 21 47                         ; attention_fwd.py:21:47
	v_cmpx_gt_i32_e64 s100, v9
	.loc	1 21 16 is_stmt 0               ; attention_fwd.py:21:16
	s_cbranch_execz .LBB0_10
; %bb.9:
	.loc	1 20 35 is_stmt 1               ; attention_fwd.py:20:35
	v_mul_lo_u32 v9, s6, v9
	.loc	1 20 47 is_stmt 0               ; attention_fwd.py:20:47
	v_lshlrev_b64 v[11:12], 1, v[1:2]
	s_delay_alu instid0(VALU_DEP_2) | instskip(NEXT) | instid1(VALU_DEP_1)
	.loc	1 20 17                         ; attention_fwd.py:20:17
	v_ashrrev_i32_e32 v10, 31, v9
	v_lshlrev_b64 v[9:10], 1, v[9:10]
	s_delay_alu instid0(VALU_DEP_1) | instskip(NEXT) | instid1(VALU_DEP_1)
	v_add_co_u32 v9, vcc_lo, s4, v9
	v_add_co_ci_u32_e64 v10, null, s5, v10, vcc_lo
	s_delay_alu instid0(VALU_DEP_2) | instskip(NEXT) | instid1(VALU_DEP_1)
	.loc	1 20 47                         ; attention_fwd.py:20:47
	v_add_co_u32 v9, vcc_lo, v9, v11
	v_add_co_ci_u32_e64 v10, null, v10, v12, vcc_lo
	.loc	1 21 16 is_stmt 1               ; attention_fwd.py:21:16
	global_load_u16 v36, v[9:10], off
.LBB0_10:
	.loc	1 0 16 is_stmt 0                ; attention_fwd.py:0:16
	s_or_b32 exec_lo, exec_lo, s0
	.loc	1 17 46 is_stmt 1               ; attention_fwd.py:17:46
	v_or_b32_e32 v9, 10, v99
	.loc	1 21 16                         ; attention_fwd.py:21:16
	s_mov_b32 s0, exec_lo
	s_delay_alu instid0(VALU_DEP_1) | instskip(NEXT) | instid1(VALU_DEP_1)
	.loc	1 17 33                         ; attention_fwd.py:17:33
	v_or_b32_e32 v10, s41, v9
	.loc	1 21 47                         ; attention_fwd.py:21:47
	v_cmpx_gt_i32_e64 s100, v10
	.loc	1 21 16 is_stmt 0               ; attention_fwd.py:21:16
	s_cbranch_execz .LBB0_12
; %bb.11:
	.loc	1 20 35 is_stmt 1               ; attention_fwd.py:20:35
	v_mul_lo_u32 v10, s6, v10
	.loc	1 20 47 is_stmt 0               ; attention_fwd.py:20:47
	v_lshlrev_b64 v[12:13], 1, v[1:2]
	s_delay_alu instid0(VALU_DEP_2) | instskip(NEXT) | instid1(VALU_DEP_1)
	.loc	1 20 17                         ; attention_fwd.py:20:17
	v_ashrrev_i32_e32 v11, 31, v10
	v_lshlrev_b64 v[10:11], 1, v[10:11]
	s_delay_alu instid0(VALU_DEP_1) | instskip(NEXT) | instid1(VALU_DEP_1)
	v_add_co_u32 v10, vcc_lo, s4, v10
	v_add_co_ci_u32_e64 v11, null, s5, v11, vcc_lo
	s_delay_alu instid0(VALU_DEP_2) | instskip(NEXT) | instid1(VALU_DEP_1)
	.loc	1 20 47                         ; attention_fwd.py:20:47
	v_add_co_u32 v10, vcc_lo, v10, v12
	v_add_co_ci_u32_e64 v11, null, v11, v13, vcc_lo
	.loc	1 21 16 is_stmt 1               ; attention_fwd.py:21:16
	global_load_u16 v35, v[10:11], off
.LBB0_12:
	.loc	1 0 16 is_stmt 0                ; attention_fwd.py:0:16
	s_or_b32 exec_lo, exec_lo, s0
	.loc	1 17 46 is_stmt 1               ; attention_fwd.py:17:46
	v_or_b32_e32 v10, 12, v99
	v_dual_mov_b32 v37, 0 :: v_dual_mov_b32 v38, 0
	.loc	1 21 16                         ; attention_fwd.py:21:16
	s_mov_b32 s0, exec_lo
	s_delay_alu instid0(VALU_DEP_2) | instskip(NEXT) | instid1(VALU_DEP_1)
	.loc	1 17 33                         ; attention_fwd.py:17:33
	v_or_b32_e32 v11, s41, v10
	.loc	1 21 47                         ; attention_fwd.py:21:47
	v_cmpx_gt_i32_e64 s100, v11
	.loc	1 21 16 is_stmt 0               ; attention_fwd.py:21:16
	s_cbranch_execz .LBB0_14
; %bb.13:
	.loc	1 20 35 is_stmt 1               ; attention_fwd.py:20:35
	v_mul_lo_u32 v11, s6, v11
	.loc	1 20 47 is_stmt 0               ; attention_fwd.py:20:47
	v_lshlrev_b64 v[13:14], 1, v[1:2]
	s_delay_alu instid0(VALU_DEP_2) | instskip(NEXT) | instid1(VALU_DEP_1)
	.loc	1 20 17                         ; attention_fwd.py:20:17
	v_ashrrev_i32_e32 v12, 31, v11
	v_lshlrev_b64 v[11:12], 1, v[11:12]
	s_delay_alu instid0(VALU_DEP_1) | instskip(NEXT) | instid1(VALU_DEP_1)
	v_add_co_u32 v11, vcc_lo, s4, v11
	v_add_co_ci_u32_e64 v12, null, s5, v12, vcc_lo
	s_delay_alu instid0(VALU_DEP_2) | instskip(NEXT) | instid1(VALU_DEP_1)
	.loc	1 20 47                         ; attention_fwd.py:20:47
	v_add_co_u32 v11, vcc_lo, v11, v13
	v_add_co_ci_u32_e64 v12, null, v12, v14, vcc_lo
	.loc	1 21 16 is_stmt 1               ; attention_fwd.py:21:16
	global_load_u16 v38, v[11:12], off
.LBB0_14:
	.loc	1 0 16 is_stmt 0                ; attention_fwd.py:0:16
	s_or_b32 exec_lo, exec_lo, s0
	.loc	1 17 46 is_stmt 1               ; attention_fwd.py:17:46
	v_or_b32_e32 v11, 14, v99
	.loc	1 21 16                         ; attention_fwd.py:21:16
	s_mov_b32 s0, exec_lo
	s_delay_alu instid0(VALU_DEP_1) | instskip(NEXT) | instid1(VALU_DEP_1)
	.loc	1 17 33                         ; attention_fwd.py:17:33
	v_or_b32_e32 v12, s41, v11
	.loc	1 21 47                         ; attention_fwd.py:21:47
	v_cmpx_gt_i32_e64 s100, v12
	.loc	1 21 16 is_stmt 0               ; attention_fwd.py:21:16
	s_cbranch_execz .LBB0_16
; %bb.15:
	.loc	1 20 35 is_stmt 1               ; attention_fwd.py:20:35
	v_mul_lo_u32 v12, s6, v12
	.loc	1 20 47 is_stmt 0               ; attention_fwd.py:20:47
	v_lshlrev_b64 v[14:15], 1, v[1:2]
	s_delay_alu instid0(VALU_DEP_2) | instskip(NEXT) | instid1(VALU_DEP_1)
	.loc	1 20 17                         ; attention_fwd.py:20:17
	v_ashrrev_i32_e32 v13, 31, v12
	v_lshlrev_b64 v[12:13], 1, v[12:13]
	s_delay_alu instid0(VALU_DEP_1) | instskip(NEXT) | instid1(VALU_DEP_1)
	v_add_co_u32 v12, vcc_lo, s4, v12
	v_add_co_ci_u32_e64 v13, null, s5, v13, vcc_lo
	s_delay_alu instid0(VALU_DEP_2) | instskip(NEXT) | instid1(VALU_DEP_1)
	.loc	1 20 47                         ; attention_fwd.py:20:47
	v_add_co_u32 v12, vcc_lo, v12, v14
	v_add_co_ci_u32_e64 v13, null, v13, v15, vcc_lo
	.loc	1 21 16 is_stmt 1               ; attention_fwd.py:21:16
	global_load_u16 v37, v[12:13], off
.LBB0_16:
	.loc	1 0 16 is_stmt 0                ; attention_fwd.py:0:16
	s_or_b32 exec_lo, exec_lo, s0
	.loc	1 17 46 is_stmt 1               ; attention_fwd.py:17:46
	v_or_b32_e32 v12, 16, v99
	v_dual_mov_b32 v39, 0 :: v_dual_mov_b32 v40, 0
	.loc	1 21 16                         ; attention_fwd.py:21:16
	s_mov_b32 s0, exec_lo
	s_delay_alu instid0(VALU_DEP_2) | instskip(NEXT) | instid1(VALU_DEP_1)
	.loc	1 17 33                         ; attention_fwd.py:17:33
	v_or_b32_e32 v13, s41, v12
	.loc	1 21 47                         ; attention_fwd.py:21:47
	v_cmpx_gt_i32_e64 s100, v13
	.loc	1 21 16 is_stmt 0               ; attention_fwd.py:21:16
	s_cbranch_execz .LBB0_18
; %bb.17:
	.loc	1 20 35 is_stmt 1               ; attention_fwd.py:20:35
	v_mul_lo_u32 v13, s6, v13
	.loc	1 20 47 is_stmt 0               ; attention_fwd.py:20:47
	v_lshlrev_b64 v[15:16], 1, v[1:2]
	s_delay_alu instid0(VALU_DEP_2) | instskip(NEXT) | instid1(VALU_DEP_1)
	.loc	1 20 17                         ; attention_fwd.py:20:17
	v_ashrrev_i32_e32 v14, 31, v13
	v_lshlrev_b64 v[13:14], 1, v[13:14]
	s_delay_alu instid0(VALU_DEP_1) | instskip(NEXT) | instid1(VALU_DEP_1)
	v_add_co_u32 v13, vcc_lo, s4, v13
	v_add_co_ci_u32_e64 v14, null, s5, v14, vcc_lo
	s_delay_alu instid0(VALU_DEP_2) | instskip(NEXT) | instid1(VALU_DEP_1)
	.loc	1 20 47                         ; attention_fwd.py:20:47
	v_add_co_u32 v13, vcc_lo, v13, v15
	v_add_co_ci_u32_e64 v14, null, v14, v16, vcc_lo
	.loc	1 21 16 is_stmt 1               ; attention_fwd.py:21:16
	global_load_u16 v40, v[13:14], off
.LBB0_18:
	.loc	1 0 16 is_stmt 0                ; attention_fwd.py:0:16
	s_or_b32 exec_lo, exec_lo, s0
	.loc	1 17 46 is_stmt 1               ; attention_fwd.py:17:46
	v_or_b32_e32 v13, 18, v99
	.loc	1 21 16                         ; attention_fwd.py:21:16
	s_mov_b32 s0, exec_lo
	s_delay_alu instid0(VALU_DEP_1) | instskip(NEXT) | instid1(VALU_DEP_1)
	.loc	1 17 33                         ; attention_fwd.py:17:33
	v_or_b32_e32 v14, s41, v13
	.loc	1 21 47                         ; attention_fwd.py:21:47
	v_cmpx_gt_i32_e64 s100, v14
	.loc	1 21 16 is_stmt 0               ; attention_fwd.py:21:16
	s_cbranch_execz .LBB0_20
; %bb.19:
	.loc	1 20 35 is_stmt 1               ; attention_fwd.py:20:35
	v_mul_lo_u32 v14, s6, v14
	.loc	1 20 47 is_stmt 0               ; attention_fwd.py:20:47
	v_lshlrev_b64 v[16:17], 1, v[1:2]
	s_delay_alu instid0(VALU_DEP_2) | instskip(NEXT) | instid1(VALU_DEP_1)
	.loc	1 20 17                         ; attention_fwd.py:20:17
	v_ashrrev_i32_e32 v15, 31, v14
	v_lshlrev_b64 v[14:15], 1, v[14:15]
	s_delay_alu instid0(VALU_DEP_1) | instskip(NEXT) | instid1(VALU_DEP_1)
	v_add_co_u32 v14, vcc_lo, s4, v14
	v_add_co_ci_u32_e64 v15, null, s5, v15, vcc_lo
	s_delay_alu instid0(VALU_DEP_2) | instskip(NEXT) | instid1(VALU_DEP_1)
	.loc	1 20 47                         ; attention_fwd.py:20:47
	v_add_co_u32 v14, vcc_lo, v14, v16
	v_add_co_ci_u32_e64 v15, null, v15, v17, vcc_lo
	.loc	1 21 16 is_stmt 1               ; attention_fwd.py:21:16
	global_load_u16 v39, v[14:15], off
.LBB0_20:
	.loc	1 0 16 is_stmt 0                ; attention_fwd.py:0:16
	s_or_b32 exec_lo, exec_lo, s0
	.loc	1 17 46 is_stmt 1               ; attention_fwd.py:17:46
	v_or_b32_e32 v14, 20, v99
	v_dual_mov_b32 v41, 0 :: v_dual_mov_b32 v42, 0
	.loc	1 21 16                         ; attention_fwd.py:21:16
	s_mov_b32 s0, exec_lo
	s_delay_alu instid0(VALU_DEP_2) | instskip(NEXT) | instid1(VALU_DEP_1)
	.loc	1 17 33                         ; attention_fwd.py:17:33
	v_or_b32_e32 v15, s41, v14
	.loc	1 21 47                         ; attention_fwd.py:21:47
	v_cmpx_gt_i32_e64 s100, v15
	.loc	1 21 16 is_stmt 0               ; attention_fwd.py:21:16
	s_cbranch_execz .LBB0_22
; %bb.21:
	.loc	1 20 35 is_stmt 1               ; attention_fwd.py:20:35
	v_mul_lo_u32 v15, s6, v15
	.loc	1 20 47 is_stmt 0               ; attention_fwd.py:20:47
	v_lshlrev_b64 v[17:18], 1, v[1:2]
	s_delay_alu instid0(VALU_DEP_2) | instskip(NEXT) | instid1(VALU_DEP_1)
	.loc	1 20 17                         ; attention_fwd.py:20:17
	v_ashrrev_i32_e32 v16, 31, v15
	v_lshlrev_b64 v[15:16], 1, v[15:16]
	s_delay_alu instid0(VALU_DEP_1) | instskip(NEXT) | instid1(VALU_DEP_1)
	v_add_co_u32 v15, vcc_lo, s4, v15
	v_add_co_ci_u32_e64 v16, null, s5, v16, vcc_lo
	s_delay_alu instid0(VALU_DEP_2) | instskip(NEXT) | instid1(VALU_DEP_1)
	.loc	1 20 47                         ; attention_fwd.py:20:47
	v_add_co_u32 v15, vcc_lo, v15, v17
	v_add_co_ci_u32_e64 v16, null, v16, v18, vcc_lo
	.loc	1 21 16 is_stmt 1               ; attention_fwd.py:21:16
	global_load_u16 v42, v[15:16], off
.LBB0_22:
	.loc	1 0 16 is_stmt 0                ; attention_fwd.py:0:16
	s_or_b32 exec_lo, exec_lo, s0
	.loc	1 17 46 is_stmt 1               ; attention_fwd.py:17:46
	v_or_b32_e32 v15, 22, v99
	.loc	1 21 16                         ; attention_fwd.py:21:16
	s_mov_b32 s0, exec_lo
	s_delay_alu instid0(VALU_DEP_1) | instskip(NEXT) | instid1(VALU_DEP_1)
	.loc	1 17 33                         ; attention_fwd.py:17:33
	v_or_b32_e32 v16, s41, v15
	.loc	1 21 47                         ; attention_fwd.py:21:47
	v_cmpx_gt_i32_e64 s100, v16
	.loc	1 21 16 is_stmt 0               ; attention_fwd.py:21:16
	s_cbranch_execz .LBB0_24
; %bb.23:
	.loc	1 20 35 is_stmt 1               ; attention_fwd.py:20:35
	v_mul_lo_u32 v16, s6, v16
	.loc	1 20 47 is_stmt 0               ; attention_fwd.py:20:47
	v_lshlrev_b64 v[18:19], 1, v[1:2]
	s_delay_alu instid0(VALU_DEP_2) | instskip(NEXT) | instid1(VALU_DEP_1)
	.loc	1 20 17                         ; attention_fwd.py:20:17
	v_ashrrev_i32_e32 v17, 31, v16
	v_lshlrev_b64 v[16:17], 1, v[16:17]
	s_delay_alu instid0(VALU_DEP_1) | instskip(NEXT) | instid1(VALU_DEP_1)
	v_add_co_u32 v16, vcc_lo, s4, v16
	v_add_co_ci_u32_e64 v17, null, s5, v17, vcc_lo
	s_delay_alu instid0(VALU_DEP_2) | instskip(NEXT) | instid1(VALU_DEP_1)
	.loc	1 20 47                         ; attention_fwd.py:20:47
	v_add_co_u32 v16, vcc_lo, v16, v18
	v_add_co_ci_u32_e64 v17, null, v17, v19, vcc_lo
	.loc	1 21 16 is_stmt 1               ; attention_fwd.py:21:16
	global_load_u16 v41, v[16:17], off
.LBB0_24:
	.loc	1 0 16 is_stmt 0                ; attention_fwd.py:0:16
	s_or_b32 exec_lo, exec_lo, s0
	.loc	1 17 46 is_stmt 1               ; attention_fwd.py:17:46
	v_or_b32_e32 v16, 24, v99
	v_dual_mov_b32 v43, 0 :: v_dual_mov_b32 v44, 0
	.loc	1 21 16                         ; attention_fwd.py:21:16
	s_mov_b32 s0, exec_lo
	s_delay_alu instid0(VALU_DEP_2) | instskip(NEXT) | instid1(VALU_DEP_1)
	.loc	1 17 33                         ; attention_fwd.py:17:33
	v_or_b32_e32 v17, s41, v16
	.loc	1 21 47                         ; attention_fwd.py:21:47
	v_cmpx_gt_i32_e64 s100, v17
	.loc	1 21 16 is_stmt 0               ; attention_fwd.py:21:16
	s_cbranch_execz .LBB0_26
; %bb.25:
	.loc	1 20 35 is_stmt 1               ; attention_fwd.py:20:35
	v_mul_lo_u32 v17, s6, v17
	.loc	1 20 47 is_stmt 0               ; attention_fwd.py:20:47
	v_lshlrev_b64 v[19:20], 1, v[1:2]
	s_delay_alu instid0(VALU_DEP_2) | instskip(NEXT) | instid1(VALU_DEP_1)
	.loc	1 20 17                         ; attention_fwd.py:20:17
	v_ashrrev_i32_e32 v18, 31, v17
	v_lshlrev_b64 v[17:18], 1, v[17:18]
	s_delay_alu instid0(VALU_DEP_1) | instskip(NEXT) | instid1(VALU_DEP_1)
	v_add_co_u32 v17, vcc_lo, s4, v17
	v_add_co_ci_u32_e64 v18, null, s5, v18, vcc_lo
	s_delay_alu instid0(VALU_DEP_2) | instskip(NEXT) | instid1(VALU_DEP_1)
	.loc	1 20 47                         ; attention_fwd.py:20:47
	v_add_co_u32 v17, vcc_lo, v17, v19
	v_add_co_ci_u32_e64 v18, null, v18, v20, vcc_lo
	.loc	1 21 16 is_stmt 1               ; attention_fwd.py:21:16
	global_load_u16 v44, v[17:18], off
.LBB0_26:
	.loc	1 0 16 is_stmt 0                ; attention_fwd.py:0:16
	s_or_b32 exec_lo, exec_lo, s0
	.loc	1 17 46 is_stmt 1               ; attention_fwd.py:17:46
	v_or_b32_e32 v17, 26, v99
	.loc	1 21 16                         ; attention_fwd.py:21:16
	s_mov_b32 s0, exec_lo
	s_delay_alu instid0(VALU_DEP_1) | instskip(NEXT) | instid1(VALU_DEP_1)
	.loc	1 17 33                         ; attention_fwd.py:17:33
	v_or_b32_e32 v18, s41, v17
	.loc	1 21 47                         ; attention_fwd.py:21:47
	v_cmpx_gt_i32_e64 s100, v18
	.loc	1 21 16 is_stmt 0               ; attention_fwd.py:21:16
	s_cbranch_execz .LBB0_28
; %bb.27:
	.loc	1 20 35 is_stmt 1               ; attention_fwd.py:20:35
	v_mul_lo_u32 v18, s6, v18
	.loc	1 20 47 is_stmt 0               ; attention_fwd.py:20:47
	v_lshlrev_b64 v[20:21], 1, v[1:2]
	s_delay_alu instid0(VALU_DEP_2) | instskip(NEXT) | instid1(VALU_DEP_1)
	.loc	1 20 17                         ; attention_fwd.py:20:17
	v_ashrrev_i32_e32 v19, 31, v18
	v_lshlrev_b64 v[18:19], 1, v[18:19]
	s_delay_alu instid0(VALU_DEP_1) | instskip(NEXT) | instid1(VALU_DEP_1)
	v_add_co_u32 v18, vcc_lo, s4, v18
	v_add_co_ci_u32_e64 v19, null, s5, v19, vcc_lo
	s_delay_alu instid0(VALU_DEP_2) | instskip(NEXT) | instid1(VALU_DEP_1)
	.loc	1 20 47                         ; attention_fwd.py:20:47
	v_add_co_u32 v18, vcc_lo, v18, v20
	v_add_co_ci_u32_e64 v19, null, v19, v21, vcc_lo
	.loc	1 21 16 is_stmt 1               ; attention_fwd.py:21:16
	global_load_u16 v43, v[18:19], off
.LBB0_28:
	.loc	1 0 16 is_stmt 0                ; attention_fwd.py:0:16
	s_or_b32 exec_lo, exec_lo, s0
	.loc	1 17 46 is_stmt 1               ; attention_fwd.py:17:46
	v_or_b32_e32 v18, 28, v99
	v_dual_mov_b32 v45, 0 :: v_dual_mov_b32 v46, 0
	.loc	1 21 16                         ; attention_fwd.py:21:16
	s_mov_b32 s0, exec_lo
	s_delay_alu instid0(VALU_DEP_2) | instskip(NEXT) | instid1(VALU_DEP_1)
	.loc	1 17 33                         ; attention_fwd.py:17:33
	v_or_b32_e32 v19, s41, v18
	.loc	1 21 47                         ; attention_fwd.py:21:47
	v_cmpx_gt_i32_e64 s100, v19
	.loc	1 21 16 is_stmt 0               ; attention_fwd.py:21:16
	s_cbranch_execz .LBB0_30
; %bb.29:
	.loc	1 20 35 is_stmt 1               ; attention_fwd.py:20:35
	v_mul_lo_u32 v19, s6, v19
	.loc	1 20 47 is_stmt 0               ; attention_fwd.py:20:47
	v_lshlrev_b64 v[21:22], 1, v[1:2]
	s_delay_alu instid0(VALU_DEP_2) | instskip(NEXT) | instid1(VALU_DEP_1)
	.loc	1 20 17                         ; attention_fwd.py:20:17
	v_ashrrev_i32_e32 v20, 31, v19
	v_lshlrev_b64 v[19:20], 1, v[19:20]
	s_delay_alu instid0(VALU_DEP_1) | instskip(NEXT) | instid1(VALU_DEP_1)
	v_add_co_u32 v19, vcc_lo, s4, v19
	v_add_co_ci_u32_e64 v20, null, s5, v20, vcc_lo
	s_delay_alu instid0(VALU_DEP_2) | instskip(NEXT) | instid1(VALU_DEP_1)
	.loc	1 20 47                         ; attention_fwd.py:20:47
	v_add_co_u32 v19, vcc_lo, v19, v21
	v_add_co_ci_u32_e64 v20, null, v20, v22, vcc_lo
	.loc	1 21 16 is_stmt 1               ; attention_fwd.py:21:16
	global_load_u16 v46, v[19:20], off
.LBB0_30:
	.loc	1 0 16 is_stmt 0                ; attention_fwd.py:0:16
	s_or_b32 exec_lo, exec_lo, s0
	.loc	1 17 46 is_stmt 1               ; attention_fwd.py:17:46
	v_or_b32_e32 v19, 30, v99
	.loc	1 21 16                         ; attention_fwd.py:21:16
	s_mov_b32 s0, exec_lo
	s_delay_alu instid0(VALU_DEP_1) | instskip(NEXT) | instid1(VALU_DEP_1)
	.loc	1 17 33                         ; attention_fwd.py:17:33
	v_or_b32_e32 v20, s41, v19
	.loc	1 21 47                         ; attention_fwd.py:21:47
	v_cmpx_gt_i32_e64 s100, v20
	.loc	1 21 16 is_stmt 0               ; attention_fwd.py:21:16
	s_cbranch_execz .LBB0_32
; %bb.31:
	.loc	1 20 35 is_stmt 1               ; attention_fwd.py:20:35
	v_mul_lo_u32 v20, s6, v20
	.loc	1 20 47 is_stmt 0               ; attention_fwd.py:20:47
	v_lshlrev_b64 v[22:23], 1, v[1:2]
	s_delay_alu instid0(VALU_DEP_2) | instskip(NEXT) | instid1(VALU_DEP_1)
	.loc	1 20 17                         ; attention_fwd.py:20:17
	v_ashrrev_i32_e32 v21, 31, v20
	v_lshlrev_b64 v[20:21], 1, v[20:21]
	s_delay_alu instid0(VALU_DEP_1) | instskip(NEXT) | instid1(VALU_DEP_1)
	v_add_co_u32 v20, vcc_lo, s4, v20
	v_add_co_ci_u32_e64 v21, null, s5, v21, vcc_lo
	s_delay_alu instid0(VALU_DEP_2) | instskip(NEXT) | instid1(VALU_DEP_1)
	.loc	1 20 47                         ; attention_fwd.py:20:47
	v_add_co_u32 v20, vcc_lo, v20, v22
	v_add_co_ci_u32_e64 v21, null, v21, v23, vcc_lo
	.loc	1 21 16 is_stmt 1               ; attention_fwd.py:21:16
	global_load_u16 v45, v[20:21], off
.LBB0_32:
	.loc	1 0 16 is_stmt 0                ; attention_fwd.py:0:16
	s_or_b32 exec_lo, exec_lo, s0
	.loc	1 17 46 is_stmt 1               ; attention_fwd.py:17:46
	v_or_b32_e32 v20, 32, v99
	v_dual_mov_b32 v47, 0 :: v_dual_mov_b32 v48, 0
	.loc	1 21 16                         ; attention_fwd.py:21:16
	s_mov_b32 s0, exec_lo
	s_delay_alu instid0(VALU_DEP_2) | instskip(NEXT) | instid1(VALU_DEP_1)
	.loc	1 17 33                         ; attention_fwd.py:17:33
	v_or_b32_e32 v21, s41, v20
	.loc	1 21 47                         ; attention_fwd.py:21:47
	v_cmpx_gt_i32_e64 s100, v21
	.loc	1 21 16 is_stmt 0               ; attention_fwd.py:21:16
	s_cbranch_execz .LBB0_34
; %bb.33:
	.loc	1 20 35 is_stmt 1               ; attention_fwd.py:20:35
	v_mul_lo_u32 v21, s6, v21
	.loc	1 20 47 is_stmt 0               ; attention_fwd.py:20:47
	v_lshlrev_b64 v[23:24], 1, v[1:2]
	s_delay_alu instid0(VALU_DEP_2) | instskip(NEXT) | instid1(VALU_DEP_1)
	.loc	1 20 17                         ; attention_fwd.py:20:17
	v_ashrrev_i32_e32 v22, 31, v21
	v_lshlrev_b64 v[21:22], 1, v[21:22]
	s_delay_alu instid0(VALU_DEP_1) | instskip(NEXT) | instid1(VALU_DEP_1)
	v_add_co_u32 v21, vcc_lo, s4, v21
	v_add_co_ci_u32_e64 v22, null, s5, v22, vcc_lo
	s_delay_alu instid0(VALU_DEP_2) | instskip(NEXT) | instid1(VALU_DEP_1)
	.loc	1 20 47                         ; attention_fwd.py:20:47
	v_add_co_u32 v21, vcc_lo, v21, v23
	v_add_co_ci_u32_e64 v22, null, v22, v24, vcc_lo
	.loc	1 21 16 is_stmt 1               ; attention_fwd.py:21:16
	global_load_u16 v48, v[21:22], off
.LBB0_34:
	.loc	1 0 16 is_stmt 0                ; attention_fwd.py:0:16
	s_or_b32 exec_lo, exec_lo, s0
	.loc	1 17 46 is_stmt 1               ; attention_fwd.py:17:46
	v_or_b32_e32 v21, 34, v99
	.loc	1 21 16                         ; attention_fwd.py:21:16
	s_mov_b32 s0, exec_lo
	s_delay_alu instid0(VALU_DEP_1) | instskip(NEXT) | instid1(VALU_DEP_1)
	.loc	1 17 33                         ; attention_fwd.py:17:33
	v_or_b32_e32 v22, s41, v21
	.loc	1 21 47                         ; attention_fwd.py:21:47
	v_cmpx_gt_i32_e64 s100, v22
	.loc	1 21 16 is_stmt 0               ; attention_fwd.py:21:16
	s_cbranch_execz .LBB0_36
; %bb.35:
	.loc	1 20 35 is_stmt 1               ; attention_fwd.py:20:35
	v_mul_lo_u32 v22, s6, v22
	.loc	1 20 47 is_stmt 0               ; attention_fwd.py:20:47
	v_lshlrev_b64 v[24:25], 1, v[1:2]
	s_delay_alu instid0(VALU_DEP_2) | instskip(NEXT) | instid1(VALU_DEP_1)
	.loc	1 20 17                         ; attention_fwd.py:20:17
	v_ashrrev_i32_e32 v23, 31, v22
	v_lshlrev_b64 v[22:23], 1, v[22:23]
	s_delay_alu instid0(VALU_DEP_1) | instskip(NEXT) | instid1(VALU_DEP_1)
	v_add_co_u32 v22, vcc_lo, s4, v22
	v_add_co_ci_u32_e64 v23, null, s5, v23, vcc_lo
	s_delay_alu instid0(VALU_DEP_2) | instskip(NEXT) | instid1(VALU_DEP_1)
	.loc	1 20 47                         ; attention_fwd.py:20:47
	v_add_co_u32 v22, vcc_lo, v22, v24
	v_add_co_ci_u32_e64 v23, null, v23, v25, vcc_lo
	.loc	1 21 16 is_stmt 1               ; attention_fwd.py:21:16
	global_load_u16 v47, v[22:23], off
.LBB0_36:
	.loc	1 0 16 is_stmt 0                ; attention_fwd.py:0:16
	s_or_b32 exec_lo, exec_lo, s0
	.loc	1 17 46 is_stmt 1               ; attention_fwd.py:17:46
	v_or_b32_e32 v22, 36, v99
	v_dual_mov_b32 v49, 0 :: v_dual_mov_b32 v50, 0
	.loc	1 21 16                         ; attention_fwd.py:21:16
	s_mov_b32 s0, exec_lo
	s_delay_alu instid0(VALU_DEP_2) | instskip(NEXT) | instid1(VALU_DEP_1)
	.loc	1 17 33                         ; attention_fwd.py:17:33
	v_or_b32_e32 v23, s41, v22
	.loc	1 21 47                         ; attention_fwd.py:21:47
	v_cmpx_gt_i32_e64 s100, v23
	.loc	1 21 16 is_stmt 0               ; attention_fwd.py:21:16
	s_cbranch_execz .LBB0_38
; %bb.37:
	.loc	1 20 35 is_stmt 1               ; attention_fwd.py:20:35
	v_mul_lo_u32 v23, s6, v23
	.loc	1 20 47 is_stmt 0               ; attention_fwd.py:20:47
	v_lshlrev_b64 v[25:26], 1, v[1:2]
	s_delay_alu instid0(VALU_DEP_2) | instskip(NEXT) | instid1(VALU_DEP_1)
	.loc	1 20 17                         ; attention_fwd.py:20:17
	v_ashrrev_i32_e32 v24, 31, v23
	v_lshlrev_b64 v[23:24], 1, v[23:24]
	s_delay_alu instid0(VALU_DEP_1) | instskip(NEXT) | instid1(VALU_DEP_1)
	v_add_co_u32 v23, vcc_lo, s4, v23
	v_add_co_ci_u32_e64 v24, null, s5, v24, vcc_lo
	s_delay_alu instid0(VALU_DEP_2) | instskip(NEXT) | instid1(VALU_DEP_1)
	.loc	1 20 47                         ; attention_fwd.py:20:47
	v_add_co_u32 v23, vcc_lo, v23, v25
	v_add_co_ci_u32_e64 v24, null, v24, v26, vcc_lo
	.loc	1 21 16 is_stmt 1               ; attention_fwd.py:21:16
	global_load_u16 v50, v[23:24], off
.LBB0_38:
	.loc	1 0 16 is_stmt 0                ; attention_fwd.py:0:16
	s_or_b32 exec_lo, exec_lo, s0
	.loc	1 17 46 is_stmt 1               ; attention_fwd.py:17:46
	v_or_b32_e32 v23, 38, v99
	.loc	1 21 16                         ; attention_fwd.py:21:16
	s_mov_b32 s0, exec_lo
	s_delay_alu instid0(VALU_DEP_1) | instskip(NEXT) | instid1(VALU_DEP_1)
	.loc	1 17 33                         ; attention_fwd.py:17:33
	v_or_b32_e32 v24, s41, v23
	.loc	1 21 47                         ; attention_fwd.py:21:47
	v_cmpx_gt_i32_e64 s100, v24
	.loc	1 21 16 is_stmt 0               ; attention_fwd.py:21:16
	s_cbranch_execz .LBB0_40
; %bb.39:
	.loc	1 20 35 is_stmt 1               ; attention_fwd.py:20:35
	v_mul_lo_u32 v24, s6, v24
	.loc	1 20 47 is_stmt 0               ; attention_fwd.py:20:47
	v_lshlrev_b64 v[26:27], 1, v[1:2]
	s_delay_alu instid0(VALU_DEP_2) | instskip(NEXT) | instid1(VALU_DEP_1)
	.loc	1 20 17                         ; attention_fwd.py:20:17
	v_ashrrev_i32_e32 v25, 31, v24
	v_lshlrev_b64 v[24:25], 1, v[24:25]
	s_delay_alu instid0(VALU_DEP_1) | instskip(NEXT) | instid1(VALU_DEP_1)
	v_add_co_u32 v24, vcc_lo, s4, v24
	v_add_co_ci_u32_e64 v25, null, s5, v25, vcc_lo
	s_delay_alu instid0(VALU_DEP_2) | instskip(NEXT) | instid1(VALU_DEP_1)
	.loc	1 20 47                         ; attention_fwd.py:20:47
	v_add_co_u32 v24, vcc_lo, v24, v26
	v_add_co_ci_u32_e64 v25, null, v25, v27, vcc_lo
	.loc	1 21 16 is_stmt 1               ; attention_fwd.py:21:16
	global_load_u16 v49, v[24:25], off
.LBB0_40:
	.loc	1 0 16 is_stmt 0                ; attention_fwd.py:0:16
	s_or_b32 exec_lo, exec_lo, s0
	.loc	1 17 46 is_stmt 1               ; attention_fwd.py:17:46
	v_or_b32_e32 v24, 40, v99
	v_dual_mov_b32 v51, 0 :: v_dual_mov_b32 v52, 0
	.loc	1 21 16                         ; attention_fwd.py:21:16
	s_mov_b32 s0, exec_lo
	s_delay_alu instid0(VALU_DEP_2) | instskip(NEXT) | instid1(VALU_DEP_1)
	.loc	1 17 33                         ; attention_fwd.py:17:33
	v_or_b32_e32 v25, s41, v24
	.loc	1 21 47                         ; attention_fwd.py:21:47
	v_cmpx_gt_i32_e64 s100, v25
	.loc	1 21 16 is_stmt 0               ; attention_fwd.py:21:16
	s_cbranch_execz .LBB0_42
; %bb.41:
	.loc	1 20 35 is_stmt 1               ; attention_fwd.py:20:35
	v_mul_lo_u32 v25, s6, v25
	.loc	1 20 47 is_stmt 0               ; attention_fwd.py:20:47
	v_lshlrev_b64 v[27:28], 1, v[1:2]
	s_delay_alu instid0(VALU_DEP_2) | instskip(NEXT) | instid1(VALU_DEP_1)
	.loc	1 20 17                         ; attention_fwd.py:20:17
	v_ashrrev_i32_e32 v26, 31, v25
	v_lshlrev_b64 v[25:26], 1, v[25:26]
	s_delay_alu instid0(VALU_DEP_1) | instskip(NEXT) | instid1(VALU_DEP_1)
	v_add_co_u32 v25, vcc_lo, s4, v25
	v_add_co_ci_u32_e64 v26, null, s5, v26, vcc_lo
	s_delay_alu instid0(VALU_DEP_2) | instskip(NEXT) | instid1(VALU_DEP_1)
	.loc	1 20 47                         ; attention_fwd.py:20:47
	v_add_co_u32 v25, vcc_lo, v25, v27
	v_add_co_ci_u32_e64 v26, null, v26, v28, vcc_lo
	.loc	1 21 16 is_stmt 1               ; attention_fwd.py:21:16
	global_load_u16 v52, v[25:26], off
.LBB0_42:
	.loc	1 0 16 is_stmt 0                ; attention_fwd.py:0:16
	s_or_b32 exec_lo, exec_lo, s0
	.loc	1 17 46 is_stmt 1               ; attention_fwd.py:17:46
	v_or_b32_e32 v26, 42, v99
	.loc	1 21 16                         ; attention_fwd.py:21:16
	s_mov_b32 s0, exec_lo
	s_delay_alu instid0(VALU_DEP_1) | instskip(NEXT) | instid1(VALU_DEP_1)
	.loc	1 17 33                         ; attention_fwd.py:17:33
	v_or_b32_e32 v25, s41, v26
	.loc	1 21 47                         ; attention_fwd.py:21:47
	v_cmpx_gt_i32_e64 s100, v25
	.loc	1 21 16 is_stmt 0               ; attention_fwd.py:21:16
	s_cbranch_execz .LBB0_44
; %bb.43:
	.loc	1 20 35 is_stmt 1               ; attention_fwd.py:20:35
	v_mul_lo_u32 v27, s6, v25
	.loc	1 20 47 is_stmt 0               ; attention_fwd.py:20:47
	v_lshlrev_b64 v[29:30], 1, v[1:2]
	s_delay_alu instid0(VALU_DEP_2) | instskip(NEXT) | instid1(VALU_DEP_1)
	.loc	1 20 17                         ; attention_fwd.py:20:17
	v_ashrrev_i32_e32 v28, 31, v27
	v_lshlrev_b64 v[27:28], 1, v[27:28]
	s_delay_alu instid0(VALU_DEP_1) | instskip(NEXT) | instid1(VALU_DEP_1)
	v_add_co_u32 v25, vcc_lo, s4, v27
	v_add_co_ci_u32_e64 v28, null, s5, v28, vcc_lo
	s_delay_alu instid0(VALU_DEP_2) | instskip(NEXT) | instid1(VALU_DEP_1)
	.loc	1 20 47                         ; attention_fwd.py:20:47
	v_add_co_u32 v27, vcc_lo, v25, v29
	v_add_co_ci_u32_e64 v28, null, v28, v30, vcc_lo
	.loc	1 21 16 is_stmt 1               ; attention_fwd.py:21:16
	global_load_u16 v51, v[27:28], off
.LBB0_44:
	.loc	1 0 16 is_stmt 0                ; attention_fwd.py:0:16
	s_or_b32 exec_lo, exec_lo, s0
	.loc	1 17 46 is_stmt 1               ; attention_fwd.py:17:46
	v_or_b32_e32 v27, 44, v99
	v_dual_mov_b32 v53, 0 :: v_dual_mov_b32 v54, 0
	.loc	1 21 16                         ; attention_fwd.py:21:16
	s_mov_b32 s0, exec_lo
	s_delay_alu instid0(VALU_DEP_2) | instskip(NEXT) | instid1(VALU_DEP_1)
	.loc	1 17 33                         ; attention_fwd.py:17:33
	v_or_b32_e32 v25, s41, v27
	.loc	1 21 47                         ; attention_fwd.py:21:47
	v_cmpx_gt_i32_e64 s100, v25
	.loc	1 21 16 is_stmt 0               ; attention_fwd.py:21:16
	s_cbranch_execz .LBB0_46
; %bb.45:
	.loc	1 20 35 is_stmt 1               ; attention_fwd.py:20:35
	v_mul_lo_u32 v28, s6, v25
	.loc	1 20 47 is_stmt 0               ; attention_fwd.py:20:47
	v_lshlrev_b64 v[30:31], 1, v[1:2]
	s_delay_alu instid0(VALU_DEP_2) | instskip(NEXT) | instid1(VALU_DEP_1)
	.loc	1 20 17                         ; attention_fwd.py:20:17
	v_ashrrev_i32_e32 v29, 31, v28
	v_lshlrev_b64 v[28:29], 1, v[28:29]
	s_delay_alu instid0(VALU_DEP_1) | instskip(NEXT) | instid1(VALU_DEP_1)
	v_add_co_u32 v25, vcc_lo, s4, v28
	v_add_co_ci_u32_e64 v29, null, s5, v29, vcc_lo
	s_delay_alu instid0(VALU_DEP_2) | instskip(NEXT) | instid1(VALU_DEP_1)
	.loc	1 20 47                         ; attention_fwd.py:20:47
	v_add_co_u32 v28, vcc_lo, v25, v30
	v_add_co_ci_u32_e64 v29, null, v29, v31, vcc_lo
	.loc	1 21 16 is_stmt 1               ; attention_fwd.py:21:16
	global_load_u16 v54, v[28:29], off
.LBB0_46:
	.loc	1 0 16 is_stmt 0                ; attention_fwd.py:0:16
	s_or_b32 exec_lo, exec_lo, s0
	.loc	1 17 46 is_stmt 1               ; attention_fwd.py:17:46
	v_or_b32_e32 v28, 46, v99
	.loc	1 21 16                         ; attention_fwd.py:21:16
	s_mov_b32 s0, exec_lo
	s_delay_alu instid0(VALU_DEP_1) | instskip(NEXT) | instid1(VALU_DEP_1)
	.loc	1 17 33                         ; attention_fwd.py:17:33
	v_or_b32_e32 v25, s41, v28
	.loc	1 21 47                         ; attention_fwd.py:21:47
	v_cmpx_gt_i32_e64 s100, v25
	.loc	1 21 16 is_stmt 0               ; attention_fwd.py:21:16
	s_cbranch_execz .LBB0_48
; %bb.47:
	.loc	1 20 35 is_stmt 1               ; attention_fwd.py:20:35
	v_mul_lo_u32 v29, s6, v25
	.loc	1 20 47 is_stmt 0               ; attention_fwd.py:20:47
	v_lshlrev_b64 v[55:56], 1, v[1:2]
	s_delay_alu instid0(VALU_DEP_2) | instskip(NEXT) | instid1(VALU_DEP_1)
	.loc	1 20 17                         ; attention_fwd.py:20:17
	v_ashrrev_i32_e32 v30, 31, v29
	v_lshlrev_b64 v[29:30], 1, v[29:30]
	s_delay_alu instid0(VALU_DEP_1) | instskip(NEXT) | instid1(VALU_DEP_1)
	v_add_co_u32 v25, vcc_lo, s4, v29
	v_add_co_ci_u32_e64 v30, null, s5, v30, vcc_lo
	s_delay_alu instid0(VALU_DEP_2) | instskip(NEXT) | instid1(VALU_DEP_1)
	.loc	1 20 47                         ; attention_fwd.py:20:47
	v_add_co_u32 v29, vcc_lo, v25, v55
	v_add_co_ci_u32_e64 v30, null, v30, v56, vcc_lo
	.loc	1 21 16 is_stmt 1               ; attention_fwd.py:21:16
	global_load_u16 v53, v[29:30], off
.LBB0_48:
	.loc	1 0 16 is_stmt 0                ; attention_fwd.py:0:16
	s_or_b32 exec_lo, exec_lo, s0
	.loc	1 17 46 is_stmt 1               ; attention_fwd.py:17:46
	v_or_b32_e32 v29, 48, v99
	v_dual_mov_b32 v55, 0 :: v_dual_mov_b32 v56, 0
	.loc	1 21 16                         ; attention_fwd.py:21:16
	s_mov_b32 s0, exec_lo
	s_delay_alu instid0(VALU_DEP_2) | instskip(NEXT) | instid1(VALU_DEP_1)
	.loc	1 17 33                         ; attention_fwd.py:17:33
	v_or_b32_e32 v25, s41, v29
	.loc	1 21 47                         ; attention_fwd.py:21:47
	v_cmpx_gt_i32_e64 s100, v25
	.loc	1 21 16 is_stmt 0               ; attention_fwd.py:21:16
	s_cbranch_execz .LBB0_50
; %bb.49:
	.loc	1 20 35 is_stmt 1               ; attention_fwd.py:20:35
	v_mul_lo_u32 v30, s6, v25
	.loc	1 20 47 is_stmt 0               ; attention_fwd.py:20:47
	v_lshlrev_b64 v[56:57], 1, v[1:2]
	s_delay_alu instid0(VALU_DEP_2) | instskip(NEXT) | instid1(VALU_DEP_1)
	.loc	1 20 17                         ; attention_fwd.py:20:17
	v_ashrrev_i32_e32 v31, 31, v30
	v_lshlrev_b64 v[30:31], 1, v[30:31]
	s_delay_alu instid0(VALU_DEP_1) | instskip(NEXT) | instid1(VALU_DEP_1)
	v_add_co_u32 v25, vcc_lo, s4, v30
	v_add_co_ci_u32_e64 v31, null, s5, v31, vcc_lo
	s_delay_alu instid0(VALU_DEP_2) | instskip(NEXT) | instid1(VALU_DEP_1)
	.loc	1 20 47                         ; attention_fwd.py:20:47
	v_add_co_u32 v30, vcc_lo, v25, v56
	v_add_co_ci_u32_e64 v31, null, v31, v57, vcc_lo
	.loc	1 21 16 is_stmt 1               ; attention_fwd.py:21:16
	global_load_u16 v56, v[30:31], off
.LBB0_50:
	.loc	1 0 16 is_stmt 0                ; attention_fwd.py:0:16
	s_or_b32 exec_lo, exec_lo, s0
	.loc	1 17 46 is_stmt 1               ; attention_fwd.py:17:46
	v_or_b32_e32 v30, 50, v99
	.loc	1 21 16                         ; attention_fwd.py:21:16
	s_mov_b32 s0, exec_lo
	s_delay_alu instid0(VALU_DEP_1) | instskip(NEXT) | instid1(VALU_DEP_1)
	.loc	1 17 33                         ; attention_fwd.py:17:33
	v_or_b32_e32 v25, s41, v30
	.loc	1 21 47                         ; attention_fwd.py:21:47
	v_cmpx_gt_i32_e64 s100, v25
	.loc	1 21 16 is_stmt 0               ; attention_fwd.py:21:16
	s_cbranch_execz .LBB0_52
; %bb.51:
	.loc	1 20 35 is_stmt 1               ; attention_fwd.py:20:35
	v_mul_lo_u32 v57, s6, v25
	.loc	1 20 47 is_stmt 0               ; attention_fwd.py:20:47
	v_lshlrev_b64 v[59:60], 1, v[1:2]
	s_delay_alu instid0(VALU_DEP_2) | instskip(NEXT) | instid1(VALU_DEP_1)
	.loc	1 20 17                         ; attention_fwd.py:20:17
	v_ashrrev_i32_e32 v58, 31, v57
	v_lshlrev_b64 v[57:58], 1, v[57:58]
	s_delay_alu instid0(VALU_DEP_1) | instskip(NEXT) | instid1(VALU_DEP_1)
	v_add_co_u32 v25, vcc_lo, s4, v57
	v_add_co_ci_u32_e64 v31, null, s5, v58, vcc_lo
	s_delay_alu instid0(VALU_DEP_2) | instskip(NEXT) | instid1(VALU_DEP_1)
	.loc	1 20 47                         ; attention_fwd.py:20:47
	v_add_co_u32 v57, vcc_lo, v25, v59
	v_add_co_ci_u32_e64 v58, null, v31, v60, vcc_lo
	.loc	1 21 16 is_stmt 1               ; attention_fwd.py:21:16
	global_load_u16 v55, v[57:58], off
.LBB0_52:
	.loc	1 0 16 is_stmt 0                ; attention_fwd.py:0:16
	s_or_b32 exec_lo, exec_lo, s0
	.loc	1 17 46 is_stmt 1               ; attention_fwd.py:17:46
	v_or_b32_e32 v31, 52, v99
	v_dual_mov_b32 v57, 0 :: v_dual_mov_b32 v58, 0
	.loc	1 21 16                         ; attention_fwd.py:21:16
	s_mov_b32 s0, exec_lo
	s_delay_alu instid0(VALU_DEP_2) | instskip(NEXT) | instid1(VALU_DEP_1)
	.loc	1 17 33                         ; attention_fwd.py:17:33
	v_or_b32_e32 v25, s41, v31
	.loc	1 21 47                         ; attention_fwd.py:21:47
	v_cmpx_gt_i32_e64 s100, v25
	.loc	1 21 16 is_stmt 0               ; attention_fwd.py:21:16
	s_cbranch_execz .LBB0_54
; %bb.53:
	.loc	1 20 35 is_stmt 1               ; attention_fwd.py:20:35
	v_mul_lo_u32 v58, s6, v25
	.loc	1 20 47 is_stmt 0               ; attention_fwd.py:20:47
	v_lshlrev_b64 v[60:61], 1, v[1:2]
	s_delay_alu instid0(VALU_DEP_2) | instskip(NEXT) | instid1(VALU_DEP_1)
	.loc	1 20 17                         ; attention_fwd.py:20:17
	v_ashrrev_i32_e32 v59, 31, v58
	v_lshlrev_b64 v[58:59], 1, v[58:59]
	s_delay_alu instid0(VALU_DEP_1) | instskip(NEXT) | instid1(VALU_DEP_1)
	v_add_co_u32 v25, vcc_lo, s4, v58
	v_add_co_ci_u32_e64 v59, null, s5, v59, vcc_lo
	s_delay_alu instid0(VALU_DEP_2) | instskip(NEXT) | instid1(VALU_DEP_1)
	.loc	1 20 47                         ; attention_fwd.py:20:47
	v_add_co_u32 v58, vcc_lo, v25, v60
	v_add_co_ci_u32_e64 v59, null, v59, v61, vcc_lo
	.loc	1 21 16 is_stmt 1               ; attention_fwd.py:21:16
	global_load_u16 v58, v[58:59], off
.LBB0_54:
	.loc	1 0 16 is_stmt 0                ; attention_fwd.py:0:16
	s_or_b32 exec_lo, exec_lo, s0
	.loc	1 17 46 is_stmt 1               ; attention_fwd.py:17:46
	v_or_b32_e32 v72, 54, v99
	.loc	1 21 16                         ; attention_fwd.py:21:16
	s_mov_b32 s0, exec_lo
	s_delay_alu instid0(VALU_DEP_1) | instskip(NEXT) | instid1(VALU_DEP_1)
	.loc	1 17 33                         ; attention_fwd.py:17:33
	v_or_b32_e32 v25, s41, v72
	.loc	1 21 47                         ; attention_fwd.py:21:47
	v_cmpx_gt_i32_e64 s100, v25
	.loc	1 21 16 is_stmt 0               ; attention_fwd.py:21:16
	s_cbranch_execz .LBB0_56
; %bb.55:
	.loc	1 20 35 is_stmt 1               ; attention_fwd.py:20:35
	v_mul_lo_u32 v59, s6, v25
	.loc	1 20 47 is_stmt 0               ; attention_fwd.py:20:47
	v_lshlrev_b64 v[61:62], 1, v[1:2]
	s_delay_alu instid0(VALU_DEP_2) | instskip(NEXT) | instid1(VALU_DEP_1)
	.loc	1 20 17                         ; attention_fwd.py:20:17
	v_ashrrev_i32_e32 v60, 31, v59
	v_lshlrev_b64 v[59:60], 1, v[59:60]
	s_delay_alu instid0(VALU_DEP_1) | instskip(NEXT) | instid1(VALU_DEP_1)
	v_add_co_u32 v25, vcc_lo, s4, v59
	v_add_co_ci_u32_e64 v57, null, s5, v60, vcc_lo
	s_delay_alu instid0(VALU_DEP_2) | instskip(NEXT) | instid1(VALU_DEP_1)
	.loc	1 20 47                         ; attention_fwd.py:20:47
	v_add_co_u32 v59, vcc_lo, v25, v61
	v_add_co_ci_u32_e64 v60, null, v57, v62, vcc_lo
	.loc	1 21 16 is_stmt 1               ; attention_fwd.py:21:16
	global_load_u16 v57, v[59:60], off
.LBB0_56:
	.loc	1 0 16 is_stmt 0                ; attention_fwd.py:0:16
	s_or_b32 exec_lo, exec_lo, s0
	.loc	1 17 46 is_stmt 1               ; attention_fwd.py:17:46
	v_or_b32_e32 v89, 56, v99
	v_dual_mov_b32 v59, 0 :: v_dual_mov_b32 v60, 0
	.loc	1 21 16                         ; attention_fwd.py:21:16
	s_mov_b32 s0, exec_lo
	s_delay_alu instid0(VALU_DEP_2) | instskip(NEXT) | instid1(VALU_DEP_1)
	.loc	1 17 33                         ; attention_fwd.py:17:33
	v_or_b32_e32 v25, s41, v89
	.loc	1 21 47                         ; attention_fwd.py:21:47
	v_cmpx_gt_i32_e64 s100, v25
	.loc	1 21 16 is_stmt 0               ; attention_fwd.py:21:16
	s_cbranch_execz .LBB0_58
; %bb.57:
	.loc	1 20 35 is_stmt 1               ; attention_fwd.py:20:35
	v_mul_lo_u32 v60, s6, v25
	.loc	1 20 47 is_stmt 0               ; attention_fwd.py:20:47
	v_lshlrev_b64 v[62:63], 1, v[1:2]
	s_delay_alu instid0(VALU_DEP_2) | instskip(NEXT) | instid1(VALU_DEP_1)
	.loc	1 20 17                         ; attention_fwd.py:20:17
	v_ashrrev_i32_e32 v61, 31, v60
	v_lshlrev_b64 v[60:61], 1, v[60:61]
	s_delay_alu instid0(VALU_DEP_1) | instskip(NEXT) | instid1(VALU_DEP_1)
	v_add_co_u32 v25, vcc_lo, s4, v60
	v_add_co_ci_u32_e64 v61, null, s5, v61, vcc_lo
	s_delay_alu instid0(VALU_DEP_2) | instskip(NEXT) | instid1(VALU_DEP_1)
	.loc	1 20 47                         ; attention_fwd.py:20:47
	v_add_co_u32 v60, vcc_lo, v25, v62
	v_add_co_ci_u32_e64 v61, null, v61, v63, vcc_lo
	.loc	1 21 16 is_stmt 1               ; attention_fwd.py:21:16
	global_load_u16 v60, v[60:61], off
.LBB0_58:
	.loc	1 0 16 is_stmt 0                ; attention_fwd.py:0:16
	s_or_b32 exec_lo, exec_lo, s0
	.loc	1 17 46 is_stmt 1               ; attention_fwd.py:17:46
	v_or_b32_e32 v90, 58, v99
	.loc	1 21 16                         ; attention_fwd.py:21:16
	s_mov_b32 s0, exec_lo
	s_delay_alu instid0(VALU_DEP_1) | instskip(NEXT) | instid1(VALU_DEP_1)
	.loc	1 17 33                         ; attention_fwd.py:17:33
	v_or_b32_e32 v25, s41, v90
	.loc	1 21 47                         ; attention_fwd.py:21:47
	v_cmpx_gt_i32_e64 s100, v25
	.loc	1 21 16 is_stmt 0               ; attention_fwd.py:21:16
	s_cbranch_execz .LBB0_60
; %bb.59:
	.loc	1 20 35 is_stmt 1               ; attention_fwd.py:20:35
	v_mul_lo_u32 v61, s6, v25
	.loc	1 20 47 is_stmt 0               ; attention_fwd.py:20:47
	v_lshlrev_b64 v[63:64], 1, v[1:2]
	s_delay_alu instid0(VALU_DEP_2) | instskip(NEXT) | instid1(VALU_DEP_1)
	.loc	1 20 17                         ; attention_fwd.py:20:17
	v_ashrrev_i32_e32 v62, 31, v61
	v_lshlrev_b64 v[61:62], 1, v[61:62]
	s_delay_alu instid0(VALU_DEP_1) | instskip(NEXT) | instid1(VALU_DEP_1)
	v_add_co_u32 v25, vcc_lo, s4, v61
	v_add_co_ci_u32_e64 v59, null, s5, v62, vcc_lo
	s_delay_alu instid0(VALU_DEP_2) | instskip(NEXT) | instid1(VALU_DEP_1)
	.loc	1 20 47                         ; attention_fwd.py:20:47
	v_add_co_u32 v61, vcc_lo, v25, v63
	v_add_co_ci_u32_e64 v62, null, v59, v64, vcc_lo
	.loc	1 21 16 is_stmt 1               ; attention_fwd.py:21:16
	global_load_u16 v59, v[61:62], off
.LBB0_60:
	.loc	1 0 16 is_stmt 0                ; attention_fwd.py:0:16
	s_or_b32 exec_lo, exec_lo, s0
	.loc	1 17 46 is_stmt 1               ; attention_fwd.py:17:46
	v_or_b32_e32 v91, 60, v99
	v_dual_mov_b32 v61, 0 :: v_dual_mov_b32 v62, 0
	.loc	1 21 16                         ; attention_fwd.py:21:16
	s_mov_b32 s0, exec_lo
	s_delay_alu instid0(VALU_DEP_2) | instskip(NEXT) | instid1(VALU_DEP_1)
	.loc	1 17 33                         ; attention_fwd.py:17:33
	v_or_b32_e32 v25, s41, v91
	.loc	1 21 47                         ; attention_fwd.py:21:47
	v_cmpx_gt_i32_e64 s100, v25
	.loc	1 21 16 is_stmt 0               ; attention_fwd.py:21:16
	s_cbranch_execz .LBB0_62
; %bb.61:
	.loc	1 20 35 is_stmt 1               ; attention_fwd.py:20:35
	v_mul_lo_u32 v62, s6, v25
	.loc	1 20 47 is_stmt 0               ; attention_fwd.py:20:47
	v_lshlrev_b64 v[64:65], 1, v[1:2]
	s_delay_alu instid0(VALU_DEP_2) | instskip(NEXT) | instid1(VALU_DEP_1)
	.loc	1 20 17                         ; attention_fwd.py:20:17
	v_ashrrev_i32_e32 v63, 31, v62
	v_lshlrev_b64 v[62:63], 1, v[62:63]
	s_delay_alu instid0(VALU_DEP_1) | instskip(NEXT) | instid1(VALU_DEP_1)
	v_add_co_u32 v25, vcc_lo, s4, v62
	v_add_co_ci_u32_e64 v63, null, s5, v63, vcc_lo
	s_delay_alu instid0(VALU_DEP_2) | instskip(NEXT) | instid1(VALU_DEP_1)
	.loc	1 20 47                         ; attention_fwd.py:20:47
	v_add_co_u32 v62, vcc_lo, v25, v64
	v_add_co_ci_u32_e64 v63, null, v63, v65, vcc_lo
	.loc	1 21 16 is_stmt 1               ; attention_fwd.py:21:16
	global_load_u16 v62, v[62:63], off
.LBB0_62:
	.loc	1 0 16 is_stmt 0                ; attention_fwd.py:0:16
	s_or_b32 exec_lo, exec_lo, s0
	s_clause 0x1
	s_load_b64 s[2:3], s[42:43], 0x8
	s_load_b32 s0, s[42:43], 0x30
	.loc	1 17 46 is_stmt 1               ; attention_fwd.py:17:46
	v_or_b32_e32 v93, 62, v99
	v_and_b32_e32 v25, 64, v0
	.loc	1 21 16                         ; attention_fwd.py:21:16
	s_mov_b32 s1, exec_lo
	s_delay_alu instid0(VALU_DEP_2) | instskip(NEXT) | instid1(VALU_DEP_1)
	.loc	1 17 33                         ; attention_fwd.py:17:33
	v_or_b32_e32 v63, s41, v93
	.loc	1 21 47                         ; attention_fwd.py:21:47
	v_cmpx_gt_i32_e64 s100, v63
	.loc	1 21 16 is_stmt 0               ; attention_fwd.py:21:16
	s_cbranch_execz .LBB0_64
; %bb.63:
	.loc	1 20 35 is_stmt 1               ; attention_fwd.py:20:35
	v_mul_lo_u32 v63, s6, v63
	.loc	1 20 47 is_stmt 0               ; attention_fwd.py:20:47
	v_lshlrev_b64 v[1:2], 1, v[1:2]
	s_delay_alu instid0(VALU_DEP_2) | instskip(NEXT) | instid1(VALU_DEP_1)
	.loc	1 20 17                         ; attention_fwd.py:20:17
	v_ashrrev_i32_e32 v64, 31, v63
	v_lshlrev_b64 v[63:64], 1, v[63:64]
	s_delay_alu instid0(VALU_DEP_1) | instskip(NEXT) | instid1(VALU_DEP_1)
	v_add_co_u32 v61, vcc_lo, s4, v63
	v_add_co_ci_u32_e64 v63, null, s5, v64, vcc_lo
	s_delay_alu instid0(VALU_DEP_2) | instskip(NEXT) | instid1(VALU_DEP_1)
	.loc	1 20 47                         ; attention_fwd.py:20:47
	v_add_co_u32 v1, vcc_lo, v61, v1
	v_add_co_ci_u32_e64 v2, null, v63, v2, vcc_lo
	.loc	1 21 16 is_stmt 1               ; attention_fwd.py:21:16
	global_load_u16 v61, v[1:2], off
.LBB0_64:
	.loc	1 0 16 is_stmt 0                ; attention_fwd.py:0:16
	s_or_b32 exec_lo, exec_lo, s1
	.loc	1 17 46 is_stmt 1               ; attention_fwd.py:17:46
	v_cmp_eq_u32_e32 vcc_lo, 0, v25
	v_dual_mov_b32 v64, 0 :: v_dual_lshlrev_b32 v1, 1, v3
	v_and_b32_e32 v25, 15, v0
	v_and_b32_e32 v95, 0x60, v0
	.loc	1 21 16                         ; attention_fwd.py:21:16
	v_cndmask_b32_e64 v2, 0x90, 0, vcc_lo
	s_load_b32 s1, s[42:43], 0x2c
	.loc	1 34 51                         ; attention_fwd.py:34:51
	v_cmp_gt_i32_e32 vcc_lo, s100, v99
	.loc	1 21 16                         ; attention_fwd.py:21:16
	v_lshlrev_b32_e32 v92, 7, v25
	.loc	1 31 32                         ; attention_fwd.py:31:32
	s_cmp_lt_u32 s41, 0x7fffffc0
	.loc	1 21 16                         ; attention_fwd.py:21:16
	v_xor_b32_e32 v1, v2, v1
	.loc	1 31 32                         ; attention_fwd.py:31:32
	s_cselect_b32 s6, -1, 0
	v_mov_b32_e32 v65, 0
	s_delay_alu instid0(VALU_DEP_2) | instskip(SKIP_3) | instid1(VALU_DEP_4)
	v_xor_b32_e32 v2, 32, v1
	.loc	1 21 16                         ; attention_fwd.py:21:16
	v_add_nc_u32_e32 v101, 0, v1
	v_xor_b32_e32 v63, 64, v1
	v_xor_b32_e32 v1, 0x60, v1
	v_add_nc_u32_e32 v102, 0, v2
	v_lshlrev_b32_e32 v2, 4, v0
	s_delay_alu instid0(VALU_DEP_4) | instskip(NEXT) | instid1(VALU_DEP_4)
	v_add_nc_u32_e32 v103, 0, v63
	v_add_nc_u32_e32 v100, 0, v1
	v_lshlrev_b32_e32 v1, 6, v95
	s_waitcnt vmcnt(0)
	ds_store_b16 v101, v32
	ds_store_b16 v101, v36 offset:1024
	ds_store_b16 v101, v40 offset:2048
	;; [unrolled: 1-line block ×15, first 2 shown]
	v_and_b32_e32 v94, 0x70, v2
	ds_store_b16 v103, v34 offset:512
	ds_store_b16 v103, v38 offset:1536
	;; [unrolled: 1-line block ×16, first 2 shown]
	s_waitcnt lgkmcnt(0)
	s_barrier
	v_or3_b32 v1, v92, v1, v94
	buffer_gl0_inv
	v_add_nc_u32_e32 v2, 0, v1
	v_xad_u32 v4, v1, 16, 0
	v_xad_u32 v32, v1, 64, 0
	;; [unrolled: 1-line block ×3, first 2 shown]
	ds_load_b128 v[48:51], v2
	ds_load_b128 v[52:55], v4
	v_xad_u32 v2, v1, 32, 0
	v_xad_u32 v4, v1, 48, 0
	;; [unrolled: 1-line block ×4, first 2 shown]
	ds_load_b128 v[56:59], v2
	ds_load_b128 v[60:63], v4
	;; [unrolled: 1-line block ×6, first 2 shown]
	.loc	1 33 69                         ; attention_fwd.py:33:69
	v_mul_lo_u32 v1, s0, v3
	.loc	1 31 32                         ; attention_fwd.py:31:32
	s_and_b32 s0, s6, vcc_lo
	s_delay_alu instid0(VALU_DEP_1) | instskip(NEXT) | instid1(VALU_DEP_1)
	.loc	1 33 51                         ; attention_fwd.py:33:51
	v_ashrrev_i32_e32 v2, 31, v1
	v_lshlrev_b64 v[1:2], 1, v[1:2]
	.loc	1 34 20                         ; attention_fwd.py:34:20
	s_and_saveexec_b32 s4, s0
	s_cbranch_execz .LBB0_66
; %bb.65:
	.loc	1 0 20 is_stmt 0                ; attention_fwd.py:0:20
	v_mul_lo_u32 v65, s1, v99
	s_delay_alu instid0(VALU_DEP_1) | instskip(NEXT) | instid1(VALU_DEP_1)
	v_ashrrev_i32_e32 v66, 31, v65
	v_lshlrev_b64 v[65:66], 1, v[65:66]
	s_delay_alu instid0(VALU_DEP_1) | instskip(NEXT) | instid1(VALU_DEP_1)
	v_add_co_u32 v4, vcc_lo, s2, v65
	v_add_co_ci_u32_e64 v66, null, s3, v66, vcc_lo
	s_delay_alu instid0(VALU_DEP_2) | instskip(NEXT) | instid1(VALU_DEP_1)
	v_add_co_u32 v65, vcc_lo, v4, v1
	v_add_co_ci_u32_e64 v66, null, v66, v2, vcc_lo
	.loc	1 34 20                         ; attention_fwd.py:34:20
	global_load_u16 v65, v[65:66], off
.LBB0_66:
	.loc	1 0 20                          ; attention_fwd.py:0:20
	s_or_b32 exec_lo, exec_lo, s4
	.loc	1 34 51                         ; attention_fwd.py:34:51
	v_cmp_gt_i32_e32 vcc_lo, s100, v5
	.loc	1 31 32 is_stmt 1               ; attention_fwd.py:31:32
	s_and_b32 s7, s6, vcc_lo
	s_delay_alu instid0(SALU_CYCLE_1)
	.loc	1 34 20                         ; attention_fwd.py:34:20
	s_and_saveexec_b32 s4, s7
	s_cbranch_execz .LBB0_68
; %bb.67:
	.loc	1 33 39                         ; attention_fwd.py:33:39
	v_mul_lo_u32 v66, s1, v5
	s_delay_alu instid0(VALU_DEP_1) | instskip(NEXT) | instid1(VALU_DEP_1)
	.loc	1 33 21 is_stmt 0               ; attention_fwd.py:33:21
	v_ashrrev_i32_e32 v67, 31, v66
	v_lshlrev_b64 v[66:67], 1, v[66:67]
	s_delay_alu instid0(VALU_DEP_1) | instskip(NEXT) | instid1(VALU_DEP_1)
	v_add_co_u32 v4, vcc_lo, s2, v66
	v_add_co_ci_u32_e64 v64, null, s3, v67, vcc_lo
	s_delay_alu instid0(VALU_DEP_2) | instskip(NEXT) | instid1(VALU_DEP_1)
	.loc	1 33 51                         ; attention_fwd.py:33:51
	v_add_co_u32 v66, vcc_lo, v4, v1
	v_add_co_ci_u32_e64 v67, null, v64, v2, vcc_lo
	.loc	1 34 20 is_stmt 1               ; attention_fwd.py:34:20
	global_load_u16 v64, v[66:67], off
.LBB0_68:
	.loc	1 0 20 is_stmt 0                ; attention_fwd.py:0:20
	s_or_b32 exec_lo, exec_lo, s4
	.loc	1 34 51                         ; attention_fwd.py:34:51
	v_cmp_gt_i32_e32 vcc_lo, s100, v6
	v_mov_b32_e32 v96, 0
	v_mov_b32_e32 v66, 0
	.loc	1 31 32 is_stmt 1               ; attention_fwd.py:31:32
	s_and_b32 s8, s6, vcc_lo
	s_delay_alu instid0(SALU_CYCLE_1)
	.loc	1 34 20                         ; attention_fwd.py:34:20
	s_and_saveexec_b32 s4, s8
	s_cbranch_execz .LBB0_70
; %bb.69:
	.loc	1 33 39                         ; attention_fwd.py:33:39
	v_mul_lo_u32 v66, s1, v6
	s_delay_alu instid0(VALU_DEP_1) | instskip(NEXT) | instid1(VALU_DEP_1)
	.loc	1 33 21 is_stmt 0               ; attention_fwd.py:33:21
	v_ashrrev_i32_e32 v67, 31, v66
	v_lshlrev_b64 v[66:67], 1, v[66:67]
	s_delay_alu instid0(VALU_DEP_1) | instskip(NEXT) | instid1(VALU_DEP_1)
	v_add_co_u32 v4, vcc_lo, s2, v66
	v_add_co_ci_u32_e64 v67, null, s3, v67, vcc_lo
	s_delay_alu instid0(VALU_DEP_2) | instskip(NEXT) | instid1(VALU_DEP_1)
	.loc	1 33 51                         ; attention_fwd.py:33:51
	v_add_co_u32 v66, vcc_lo, v4, v1
	v_add_co_ci_u32_e64 v67, null, v67, v2, vcc_lo
	.loc	1 34 20 is_stmt 1               ; attention_fwd.py:34:20
	global_load_u16 v66, v[66:67], off
.LBB0_70:
	.loc	1 0 20 is_stmt 0                ; attention_fwd.py:0:20
	s_or_b32 exec_lo, exec_lo, s4
	.loc	1 34 51                         ; attention_fwd.py:34:51
	v_cmp_gt_i32_e32 vcc_lo, s100, v7
	.loc	1 31 32 is_stmt 1               ; attention_fwd.py:31:32
	s_and_b32 s9, s6, vcc_lo
	s_delay_alu instid0(SALU_CYCLE_1)
	.loc	1 34 20                         ; attention_fwd.py:34:20
	s_and_saveexec_b32 s4, s9
	s_cbranch_execz .LBB0_72
; %bb.71:
	.loc	1 33 39                         ; attention_fwd.py:33:39
	v_mul_lo_u32 v67, s1, v7
	s_delay_alu instid0(VALU_DEP_1) | instskip(NEXT) | instid1(VALU_DEP_1)
	.loc	1 33 21 is_stmt 0               ; attention_fwd.py:33:21
	v_ashrrev_i32_e32 v68, 31, v67
	v_lshlrev_b64 v[67:68], 1, v[67:68]
	s_delay_alu instid0(VALU_DEP_1) | instskip(NEXT) | instid1(VALU_DEP_1)
	v_add_co_u32 v4, vcc_lo, s2, v67
	v_add_co_ci_u32_e64 v68, null, s3, v68, vcc_lo
	s_delay_alu instid0(VALU_DEP_2) | instskip(NEXT) | instid1(VALU_DEP_1)
	.loc	1 33 51                         ; attention_fwd.py:33:51
	v_add_co_u32 v67, vcc_lo, v4, v1
	v_add_co_ci_u32_e64 v68, null, v68, v2, vcc_lo
	.loc	1 34 20 is_stmt 1               ; attention_fwd.py:34:20
	global_load_u16 v96, v[67:68], off
.LBB0_72:
	.loc	1 0 20 is_stmt 0                ; attention_fwd.py:0:20
	s_or_b32 exec_lo, exec_lo, s4
	.loc	1 34 51                         ; attention_fwd.py:34:51
	v_cmp_gt_i32_e32 vcc_lo, s100, v8
	v_dual_mov_b32 v67, 0 :: v_dual_mov_b32 v68, 0
	.loc	1 31 32 is_stmt 1               ; attention_fwd.py:31:32
	s_and_b32 s10, s6, vcc_lo
	s_delay_alu instid0(SALU_CYCLE_1)
	.loc	1 34 20                         ; attention_fwd.py:34:20
	s_and_saveexec_b32 s4, s10
	s_cbranch_execz .LBB0_74
; %bb.73:
	.loc	1 33 39                         ; attention_fwd.py:33:39
	v_mul_lo_u32 v68, s1, v8
	s_delay_alu instid0(VALU_DEP_1) | instskip(NEXT) | instid1(VALU_DEP_1)
	.loc	1 33 21 is_stmt 0               ; attention_fwd.py:33:21
	v_ashrrev_i32_e32 v69, 31, v68
	v_lshlrev_b64 v[68:69], 1, v[68:69]
	s_delay_alu instid0(VALU_DEP_1) | instskip(NEXT) | instid1(VALU_DEP_1)
	v_add_co_u32 v4, vcc_lo, s2, v68
	v_add_co_ci_u32_e64 v69, null, s3, v69, vcc_lo
	s_delay_alu instid0(VALU_DEP_2) | instskip(NEXT) | instid1(VALU_DEP_1)
	.loc	1 33 51                         ; attention_fwd.py:33:51
	v_add_co_u32 v68, vcc_lo, v4, v1
	v_add_co_ci_u32_e64 v69, null, v69, v2, vcc_lo
	.loc	1 34 20 is_stmt 1               ; attention_fwd.py:34:20
	global_load_u16 v68, v[68:69], off
.LBB0_74:
	.loc	1 0 20 is_stmt 0                ; attention_fwd.py:0:20
	s_or_b32 exec_lo, exec_lo, s4
	.loc	1 34 51                         ; attention_fwd.py:34:51
	v_cmp_gt_i32_e32 vcc_lo, s100, v9
	.loc	1 31 32 is_stmt 1               ; attention_fwd.py:31:32
	s_and_b32 s11, s6, vcc_lo
	s_delay_alu instid0(SALU_CYCLE_1)
	.loc	1 34 20                         ; attention_fwd.py:34:20
	s_and_saveexec_b32 s4, s11
	s_cbranch_execz .LBB0_76
; %bb.75:
	.loc	1 33 39                         ; attention_fwd.py:33:39
	v_mul_lo_u32 v69, s1, v9
	s_delay_alu instid0(VALU_DEP_1) | instskip(NEXT) | instid1(VALU_DEP_1)
	.loc	1 33 21 is_stmt 0               ; attention_fwd.py:33:21
	v_ashrrev_i32_e32 v70, 31, v69
	v_lshlrev_b64 v[69:70], 1, v[69:70]
	s_delay_alu instid0(VALU_DEP_1) | instskip(NEXT) | instid1(VALU_DEP_1)
	v_add_co_u32 v4, vcc_lo, s2, v69
	v_add_co_ci_u32_e64 v67, null, s3, v70, vcc_lo
	s_delay_alu instid0(VALU_DEP_2) | instskip(NEXT) | instid1(VALU_DEP_1)
	.loc	1 33 51                         ; attention_fwd.py:33:51
	v_add_co_u32 v69, vcc_lo, v4, v1
	v_add_co_ci_u32_e64 v70, null, v67, v2, vcc_lo
	.loc	1 34 20 is_stmt 1               ; attention_fwd.py:34:20
	global_load_u16 v67, v[69:70], off
.LBB0_76:
	.loc	1 0 20 is_stmt 0                ; attention_fwd.py:0:20
	s_or_b32 exec_lo, exec_lo, s4
	.loc	1 34 51                         ; attention_fwd.py:34:51
	v_cmp_gt_i32_e32 vcc_lo, s100, v10
	v_mov_b32_e32 v97, 0
	v_mov_b32_e32 v69, 0
	.loc	1 31 32 is_stmt 1               ; attention_fwd.py:31:32
	s_and_b32 s12, s6, vcc_lo
	s_delay_alu instid0(SALU_CYCLE_1)
	.loc	1 34 20                         ; attention_fwd.py:34:20
	s_and_saveexec_b32 s4, s12
	s_cbranch_execz .LBB0_78
; %bb.77:
	.loc	1 33 39                         ; attention_fwd.py:33:39
	v_mul_lo_u32 v69, s1, v10
	s_delay_alu instid0(VALU_DEP_1) | instskip(NEXT) | instid1(VALU_DEP_1)
	.loc	1 33 21 is_stmt 0               ; attention_fwd.py:33:21
	v_ashrrev_i32_e32 v70, 31, v69
	v_lshlrev_b64 v[69:70], 1, v[69:70]
	s_delay_alu instid0(VALU_DEP_1) | instskip(NEXT) | instid1(VALU_DEP_1)
	v_add_co_u32 v4, vcc_lo, s2, v69
	v_add_co_ci_u32_e64 v70, null, s3, v70, vcc_lo
	s_delay_alu instid0(VALU_DEP_2) | instskip(NEXT) | instid1(VALU_DEP_1)
	.loc	1 33 51                         ; attention_fwd.py:33:51
	v_add_co_u32 v69, vcc_lo, v4, v1
	v_add_co_ci_u32_e64 v70, null, v70, v2, vcc_lo
	.loc	1 34 20 is_stmt 1               ; attention_fwd.py:34:20
	global_load_u16 v69, v[69:70], off
.LBB0_78:
	.loc	1 0 20 is_stmt 0                ; attention_fwd.py:0:20
	s_or_b32 exec_lo, exec_lo, s4
	.loc	1 34 51                         ; attention_fwd.py:34:51
	v_cmp_gt_i32_e32 vcc_lo, s100, v11
	.loc	1 31 32 is_stmt 1               ; attention_fwd.py:31:32
	s_and_b32 s13, s6, vcc_lo
	s_delay_alu instid0(SALU_CYCLE_1)
	.loc	1 34 20                         ; attention_fwd.py:34:20
	s_and_saveexec_b32 s4, s13
	s_cbranch_execz .LBB0_80
; %bb.79:
	.loc	1 33 39                         ; attention_fwd.py:33:39
	v_mul_lo_u32 v70, s1, v11
	s_delay_alu instid0(VALU_DEP_1) | instskip(NEXT) | instid1(VALU_DEP_1)
	.loc	1 33 21 is_stmt 0               ; attention_fwd.py:33:21
	v_ashrrev_i32_e32 v71, 31, v70
	v_lshlrev_b64 v[70:71], 1, v[70:71]
	s_delay_alu instid0(VALU_DEP_1) | instskip(NEXT) | instid1(VALU_DEP_1)
	v_add_co_u32 v4, vcc_lo, s2, v70
	v_add_co_ci_u32_e64 v71, null, s3, v71, vcc_lo
	s_delay_alu instid0(VALU_DEP_2) | instskip(NEXT) | instid1(VALU_DEP_1)
	.loc	1 33 51                         ; attention_fwd.py:33:51
	v_add_co_u32 v70, vcc_lo, v4, v1
	v_add_co_ci_u32_e64 v71, null, v71, v2, vcc_lo
	.loc	1 34 20 is_stmt 1               ; attention_fwd.py:34:20
	global_load_u16 v97, v[70:71], off
.LBB0_80:
	.loc	1 0 20 is_stmt 0                ; attention_fwd.py:0:20
	s_or_b32 exec_lo, exec_lo, s4
	.loc	1 34 51                         ; attention_fwd.py:34:51
	v_cmp_gt_i32_e32 vcc_lo, s100, v12
	v_dual_mov_b32 v70, 0 :: v_dual_mov_b32 v71, 0
	.loc	1 31 32 is_stmt 1               ; attention_fwd.py:31:32
	s_and_b32 s14, s6, vcc_lo
	s_delay_alu instid0(SALU_CYCLE_1)
	.loc	1 34 20                         ; attention_fwd.py:34:20
	s_and_saveexec_b32 s4, s14
	s_cbranch_execz .LBB0_82
; %bb.81:
	.loc	1 33 39                         ; attention_fwd.py:33:39
	v_mul_lo_u32 v73, s1, v12
	s_delay_alu instid0(VALU_DEP_1) | instskip(NEXT) | instid1(VALU_DEP_1)
	.loc	1 33 21 is_stmt 0               ; attention_fwd.py:33:21
	v_ashrrev_i32_e32 v74, 31, v73
	v_lshlrev_b64 v[73:74], 1, v[73:74]
	s_delay_alu instid0(VALU_DEP_1) | instskip(NEXT) | instid1(VALU_DEP_1)
	v_add_co_u32 v4, vcc_lo, s2, v73
	v_add_co_ci_u32_e64 v71, null, s3, v74, vcc_lo
	s_delay_alu instid0(VALU_DEP_2) | instskip(NEXT) | instid1(VALU_DEP_1)
	.loc	1 33 51                         ; attention_fwd.py:33:51
	v_add_co_u32 v73, vcc_lo, v4, v1
	v_add_co_ci_u32_e64 v74, null, v71, v2, vcc_lo
	.loc	1 34 20 is_stmt 1               ; attention_fwd.py:34:20
	global_load_u16 v71, v[73:74], off
.LBB0_82:
	.loc	1 0 20 is_stmt 0                ; attention_fwd.py:0:20
	s_or_b32 exec_lo, exec_lo, s4
	.loc	1 34 51                         ; attention_fwd.py:34:51
	v_cmp_gt_i32_e32 vcc_lo, s100, v13
	.loc	1 31 32 is_stmt 1               ; attention_fwd.py:31:32
	s_and_b32 s15, s6, vcc_lo
	s_delay_alu instid0(SALU_CYCLE_1)
	.loc	1 34 20                         ; attention_fwd.py:34:20
	s_and_saveexec_b32 s4, s15
	s_cbranch_execz .LBB0_84
; %bb.83:
	.loc	1 33 39                         ; attention_fwd.py:33:39
	v_mul_lo_u32 v73, s1, v13
	s_delay_alu instid0(VALU_DEP_1) | instskip(NEXT) | instid1(VALU_DEP_1)
	.loc	1 33 21 is_stmt 0               ; attention_fwd.py:33:21
	v_ashrrev_i32_e32 v74, 31, v73
	v_lshlrev_b64 v[73:74], 1, v[73:74]
	s_delay_alu instid0(VALU_DEP_1) | instskip(NEXT) | instid1(VALU_DEP_1)
	v_add_co_u32 v4, vcc_lo, s2, v73
	v_add_co_ci_u32_e64 v70, null, s3, v74, vcc_lo
	s_delay_alu instid0(VALU_DEP_2) | instskip(NEXT) | instid1(VALU_DEP_1)
	.loc	1 33 51                         ; attention_fwd.py:33:51
	v_add_co_u32 v73, vcc_lo, v4, v1
	v_add_co_ci_u32_e64 v74, null, v70, v2, vcc_lo
	.loc	1 34 20 is_stmt 1               ; attention_fwd.py:34:20
	global_load_u16 v70, v[73:74], off
.LBB0_84:
	.loc	1 0 20 is_stmt 0                ; attention_fwd.py:0:20
	s_or_b32 exec_lo, exec_lo, s4
	.loc	1 34 51                         ; attention_fwd.py:34:51
	v_cmp_gt_i32_e32 vcc_lo, s100, v14
	v_dual_mov_b32 v98, 0 :: v_dual_mov_b32 v73, 0
	;; [unrolled: 55-line block ×3, first 2 shown]
	.loc	1 31 32 is_stmt 1               ; attention_fwd.py:31:32
	s_and_b32 s18, s6, vcc_lo
	s_delay_alu instid0(SALU_CYCLE_1)
	.loc	1 34 20                         ; attention_fwd.py:34:20
	s_and_saveexec_b32 s4, s18
	s_cbranch_execz .LBB0_90
; %bb.89:
	.loc	1 33 39                         ; attention_fwd.py:33:39
	v_mul_lo_u32 v75, s1, v16
	s_delay_alu instid0(VALU_DEP_1) | instskip(NEXT) | instid1(VALU_DEP_1)
	.loc	1 33 21 is_stmt 0               ; attention_fwd.py:33:21
	v_ashrrev_i32_e32 v76, 31, v75
	v_lshlrev_b64 v[75:76], 1, v[75:76]
	s_delay_alu instid0(VALU_DEP_1) | instskip(NEXT) | instid1(VALU_DEP_1)
	v_add_co_u32 v4, vcc_lo, s2, v75
	v_add_co_ci_u32_e64 v76, null, s3, v76, vcc_lo
	s_delay_alu instid0(VALU_DEP_2) | instskip(NEXT) | instid1(VALU_DEP_1)
	.loc	1 33 51                         ; attention_fwd.py:33:51
	v_add_co_u32 v75, vcc_lo, v4, v1
	v_add_co_ci_u32_e64 v76, null, v76, v2, vcc_lo
	.loc	1 34 20 is_stmt 1               ; attention_fwd.py:34:20
	global_load_u16 v75, v[75:76], off
.LBB0_90:
	.loc	1 0 20 is_stmt 0                ; attention_fwd.py:0:20
	s_or_b32 exec_lo, exec_lo, s4
	.loc	1 34 51                         ; attention_fwd.py:34:51
	v_cmp_gt_i32_e32 vcc_lo, s100, v17
	.loc	1 31 32 is_stmt 1               ; attention_fwd.py:31:32
	s_and_b32 s19, s6, vcc_lo
	s_delay_alu instid0(SALU_CYCLE_1)
	.loc	1 34 20                         ; attention_fwd.py:34:20
	s_and_saveexec_b32 s4, s19
	s_cbranch_execz .LBB0_92
; %bb.91:
	.loc	1 33 39                         ; attention_fwd.py:33:39
	v_mul_lo_u32 v76, s1, v17
	s_delay_alu instid0(VALU_DEP_1) | instskip(NEXT) | instid1(VALU_DEP_1)
	.loc	1 33 21 is_stmt 0               ; attention_fwd.py:33:21
	v_ashrrev_i32_e32 v77, 31, v76
	v_lshlrev_b64 v[76:77], 1, v[76:77]
	s_delay_alu instid0(VALU_DEP_1) | instskip(NEXT) | instid1(VALU_DEP_1)
	v_add_co_u32 v4, vcc_lo, s2, v76
	v_add_co_ci_u32_e64 v74, null, s3, v77, vcc_lo
	s_delay_alu instid0(VALU_DEP_2) | instskip(NEXT) | instid1(VALU_DEP_1)
	.loc	1 33 51                         ; attention_fwd.py:33:51
	v_add_co_u32 v76, vcc_lo, v4, v1
	v_add_co_ci_u32_e64 v77, null, v74, v2, vcc_lo
	.loc	1 34 20 is_stmt 1               ; attention_fwd.py:34:20
	global_load_u16 v74, v[76:77], off
.LBB0_92:
	.loc	1 0 20 is_stmt 0                ; attention_fwd.py:0:20
	s_or_b32 exec_lo, exec_lo, s4
	.loc	1 34 51                         ; attention_fwd.py:34:51
	v_cmp_gt_i32_e32 vcc_lo, s100, v18
	v_mov_b32_e32 v104, 0
	v_mov_b32_e32 v76, 0
	.loc	1 31 32 is_stmt 1               ; attention_fwd.py:31:32
	s_and_b32 s20, s6, vcc_lo
	s_delay_alu instid0(SALU_CYCLE_1)
	.loc	1 34 20                         ; attention_fwd.py:34:20
	s_and_saveexec_b32 s4, s20
	s_cbranch_execz .LBB0_94
; %bb.93:
	.loc	1 33 39                         ; attention_fwd.py:33:39
	v_mul_lo_u32 v76, s1, v18
	s_delay_alu instid0(VALU_DEP_1) | instskip(NEXT) | instid1(VALU_DEP_1)
	.loc	1 33 21 is_stmt 0               ; attention_fwd.py:33:21
	v_ashrrev_i32_e32 v77, 31, v76
	v_lshlrev_b64 v[76:77], 1, v[76:77]
	s_delay_alu instid0(VALU_DEP_1) | instskip(NEXT) | instid1(VALU_DEP_1)
	v_add_co_u32 v4, vcc_lo, s2, v76
	v_add_co_ci_u32_e64 v77, null, s3, v77, vcc_lo
	s_delay_alu instid0(VALU_DEP_2) | instskip(NEXT) | instid1(VALU_DEP_1)
	.loc	1 33 51                         ; attention_fwd.py:33:51
	v_add_co_u32 v76, vcc_lo, v4, v1
	v_add_co_ci_u32_e64 v77, null, v77, v2, vcc_lo
	.loc	1 34 20 is_stmt 1               ; attention_fwd.py:34:20
	global_load_u16 v76, v[76:77], off
.LBB0_94:
	.loc	1 0 20 is_stmt 0                ; attention_fwd.py:0:20
	s_or_b32 exec_lo, exec_lo, s4
	.loc	1 34 51                         ; attention_fwd.py:34:51
	v_cmp_gt_i32_e32 vcc_lo, s100, v19
	.loc	1 31 32 is_stmt 1               ; attention_fwd.py:31:32
	s_and_b32 s21, s6, vcc_lo
	s_delay_alu instid0(SALU_CYCLE_1)
	.loc	1 34 20                         ; attention_fwd.py:34:20
	s_and_saveexec_b32 s4, s21
	s_cbranch_execz .LBB0_96
; %bb.95:
	.loc	1 33 39                         ; attention_fwd.py:33:39
	v_mul_lo_u32 v77, s1, v19
	s_delay_alu instid0(VALU_DEP_1) | instskip(NEXT) | instid1(VALU_DEP_1)
	.loc	1 33 21 is_stmt 0               ; attention_fwd.py:33:21
	v_ashrrev_i32_e32 v78, 31, v77
	v_lshlrev_b64 v[77:78], 1, v[77:78]
	s_delay_alu instid0(VALU_DEP_1) | instskip(NEXT) | instid1(VALU_DEP_1)
	v_add_co_u32 v4, vcc_lo, s2, v77
	v_add_co_ci_u32_e64 v78, null, s3, v78, vcc_lo
	s_delay_alu instid0(VALU_DEP_2) | instskip(NEXT) | instid1(VALU_DEP_1)
	.loc	1 33 51                         ; attention_fwd.py:33:51
	v_add_co_u32 v77, vcc_lo, v4, v1
	v_add_co_ci_u32_e64 v78, null, v78, v2, vcc_lo
	.loc	1 34 20 is_stmt 1               ; attention_fwd.py:34:20
	global_load_u16 v104, v[77:78], off
.LBB0_96:
	.loc	1 0 20 is_stmt 0                ; attention_fwd.py:0:20
	s_or_b32 exec_lo, exec_lo, s4
	.loc	1 34 51                         ; attention_fwd.py:34:51
	v_cmp_gt_i32_e32 vcc_lo, s100, v20
	v_dual_mov_b32 v77, 0 :: v_dual_mov_b32 v78, 0
	.loc	1 31 32 is_stmt 1               ; attention_fwd.py:31:32
	s_and_b32 s22, s6, vcc_lo
	s_delay_alu instid0(SALU_CYCLE_1)
	.loc	1 34 20                         ; attention_fwd.py:34:20
	s_and_saveexec_b32 s4, s22
	s_cbranch_execz .LBB0_98
; %bb.97:
	.loc	1 33 39                         ; attention_fwd.py:33:39
	v_mul_lo_u32 v78, s1, v20
	s_delay_alu instid0(VALU_DEP_1) | instskip(NEXT) | instid1(VALU_DEP_1)
	.loc	1 33 21 is_stmt 0               ; attention_fwd.py:33:21
	v_ashrrev_i32_e32 v79, 31, v78
	v_lshlrev_b64 v[78:79], 1, v[78:79]
	s_delay_alu instid0(VALU_DEP_1) | instskip(NEXT) | instid1(VALU_DEP_1)
	v_add_co_u32 v4, vcc_lo, s2, v78
	v_add_co_ci_u32_e64 v79, null, s3, v79, vcc_lo
	s_delay_alu instid0(VALU_DEP_2) | instskip(NEXT) | instid1(VALU_DEP_1)
	.loc	1 33 51                         ; attention_fwd.py:33:51
	v_add_co_u32 v78, vcc_lo, v4, v1
	v_add_co_ci_u32_e64 v79, null, v79, v2, vcc_lo
	.loc	1 34 20 is_stmt 1               ; attention_fwd.py:34:20
	global_load_u16 v78, v[78:79], off
.LBB0_98:
	.loc	1 0 20 is_stmt 0                ; attention_fwd.py:0:20
	s_or_b32 exec_lo, exec_lo, s4
	.loc	1 34 51                         ; attention_fwd.py:34:51
	v_cmp_gt_i32_e32 vcc_lo, s100, v21
	.loc	1 31 32 is_stmt 1               ; attention_fwd.py:31:32
	s_and_b32 s23, s6, vcc_lo
	s_delay_alu instid0(SALU_CYCLE_1)
	.loc	1 34 20                         ; attention_fwd.py:34:20
	s_and_saveexec_b32 s4, s23
	s_cbranch_execz .LBB0_100
; %bb.99:
	.loc	1 33 39                         ; attention_fwd.py:33:39
	v_mul_lo_u32 v79, s1, v21
	s_delay_alu instid0(VALU_DEP_1) | instskip(NEXT) | instid1(VALU_DEP_1)
	.loc	1 33 21 is_stmt 0               ; attention_fwd.py:33:21
	v_ashrrev_i32_e32 v80, 31, v79
	v_lshlrev_b64 v[79:80], 1, v[79:80]
	s_delay_alu instid0(VALU_DEP_1) | instskip(NEXT) | instid1(VALU_DEP_1)
	v_add_co_u32 v4, vcc_lo, s2, v79
	v_add_co_ci_u32_e64 v77, null, s3, v80, vcc_lo
	s_delay_alu instid0(VALU_DEP_2) | instskip(NEXT) | instid1(VALU_DEP_1)
	.loc	1 33 51                         ; attention_fwd.py:33:51
	v_add_co_u32 v79, vcc_lo, v4, v1
	v_add_co_ci_u32_e64 v80, null, v77, v2, vcc_lo
	.loc	1 34 20 is_stmt 1               ; attention_fwd.py:34:20
	global_load_u16 v77, v[79:80], off
.LBB0_100:
	.loc	1 0 20 is_stmt 0                ; attention_fwd.py:0:20
	s_or_b32 exec_lo, exec_lo, s4
	.loc	1 34 51                         ; attention_fwd.py:34:51
	v_cmp_gt_i32_e32 vcc_lo, s100, v22
	v_dual_mov_b32 v122, 0 :: v_dual_mov_b32 v79, 0
	;; [unrolled: 55-line block ×8, first 2 shown]
	.loc	1 31 32 is_stmt 1               ; attention_fwd.py:31:32
	s_and_b32 s37, s6, vcc_lo
	s_delay_alu instid0(SALU_CYCLE_1)
	.loc	1 34 20                         ; attention_fwd.py:34:20
	s_and_saveexec_b32 s4, s37
	s_cbranch_execz .LBB0_126
; %bb.125:
	.loc	1 33 39                         ; attention_fwd.py:33:39
	v_mul_lo_u32 v105, s1, v91
	s_delay_alu instid0(VALU_DEP_1) | instskip(NEXT) | instid1(VALU_DEP_1)
	.loc	1 33 21 is_stmt 0               ; attention_fwd.py:33:21
	v_ashrrev_i32_e32 v106, 31, v105
	v_lshlrev_b64 v[105:106], 1, v[105:106]
	s_delay_alu instid0(VALU_DEP_1) | instskip(NEXT) | instid1(VALU_DEP_1)
	v_add_co_u32 v4, vcc_lo, s2, v105
	v_add_co_ci_u32_e64 v88, null, s3, v106, vcc_lo
	s_delay_alu instid0(VALU_DEP_2) | instskip(NEXT) | instid1(VALU_DEP_1)
	.loc	1 33 51                         ; attention_fwd.py:33:51
	v_add_co_u32 v105, vcc_lo, v4, v1
	v_add_co_ci_u32_e64 v106, null, v88, v2, vcc_lo
	.loc	1 34 20 is_stmt 1               ; attention_fwd.py:34:20
	global_load_u16 v88, v[105:106], off
.LBB0_126:
	.loc	1 0 20 is_stmt 0                ; attention_fwd.py:0:20
	s_or_b32 exec_lo, exec_lo, s4
	s_clause 0x1
	s_load_b64 s[4:5], s[42:43], 0x10
	s_load_b32 s39, s[42:43], 0x38
	.loc	1 34 51                         ; attention_fwd.py:34:51
	v_cmp_gt_i32_e32 vcc_lo, s100, v93
	.loc	1 31 32 is_stmt 1               ; attention_fwd.py:31:32
	s_and_b32 s38, s6, vcc_lo
	s_delay_alu instid0(SALU_CYCLE_1)
	.loc	1 34 20                         ; attention_fwd.py:34:20
	s_and_saveexec_b32 s6, s38
	s_cbranch_execz .LBB0_128
; %bb.127:
	.loc	1 33 39                         ; attention_fwd.py:33:39
	v_mul_lo_u32 v105, s1, v93
	s_delay_alu instid0(VALU_DEP_1) | instskip(NEXT) | instid1(VALU_DEP_1)
	.loc	1 33 21 is_stmt 0               ; attention_fwd.py:33:21
	v_ashrrev_i32_e32 v106, 31, v105
	v_lshlrev_b64 v[105:106], 1, v[105:106]
	s_delay_alu instid0(VALU_DEP_1) | instskip(NEXT) | instid1(VALU_DEP_1)
	v_add_co_u32 v4, vcc_lo, s2, v105
	v_add_co_ci_u32_e64 v106, null, s3, v106, vcc_lo
	s_delay_alu instid0(VALU_DEP_2) | instskip(NEXT) | instid1(VALU_DEP_1)
	.loc	1 33 51                         ; attention_fwd.py:33:51
	v_add_co_u32 v105, vcc_lo, v4, v1
	v_add_co_ci_u32_e64 v106, null, v106, v2, vcc_lo
	.loc	1 34 20 is_stmt 1               ; attention_fwd.py:34:20
	global_load_u16 v125, v[105:106], off
.LBB0_128:
	.loc	1 0 20 is_stmt 0                ; attention_fwd.py:0:20
	s_or_b32 exec_lo, exec_lo, s6
	s_load_b32 s6, s[42:43], 0x34
	.loc	1 44 69 is_stmt 1               ; attention_fwd.py:44:69
	s_waitcnt lgkmcnt(0)
	v_mul_lo_u32 v3, s39, v3
	v_dual_mov_b32 v105, 0 :: v_dual_mov_b32 v108, 0
	s_delay_alu instid0(VALU_DEP_2) | instskip(NEXT) | instid1(VALU_DEP_1)
	.loc	1 44 51 is_stmt 0               ; attention_fwd.py:44:51
	v_ashrrev_i32_e32 v4, 31, v3
	v_lshlrev_b64 v[3:4], 1, v[3:4]
	.loc	1 45 20 is_stmt 1               ; attention_fwd.py:45:20
	s_and_saveexec_b32 s39, s0
	s_cbranch_execz .LBB0_130
; %bb.129:
	.loc	1 0 20 is_stmt 0                ; attention_fwd.py:0:20
	v_mul_lo_u32 v106, s6, v99
	s_delay_alu instid0(VALU_DEP_1) | instskip(NEXT) | instid1(VALU_DEP_1)
	v_ashrrev_i32_e32 v107, 31, v106
	v_lshlrev_b64 v[106:107], 1, v[106:107]
	s_delay_alu instid0(VALU_DEP_1) | instskip(NEXT) | instid1(VALU_DEP_1)
	v_add_co_u32 v106, vcc_lo, s4, v106
	v_add_co_ci_u32_e64 v107, null, s5, v107, vcc_lo
	s_delay_alu instid0(VALU_DEP_2) | instskip(NEXT) | instid1(VALU_DEP_1)
	v_add_co_u32 v106, vcc_lo, v106, v3
	v_add_co_ci_u32_e64 v107, null, v107, v4, vcc_lo
	.loc	1 45 20                         ; attention_fwd.py:45:20
	global_load_u16 v108, v[106:107], off
.LBB0_130:
	.loc	1 0 20                          ; attention_fwd.py:0:20
	s_or_b32 exec_lo, exec_lo, s39
	.loc	1 45 20                         ; attention_fwd.py:45:20
	s_and_saveexec_b32 s0, s7
	s_cbranch_execz .LBB0_132
; %bb.131:
	.loc	1 44 39 is_stmt 1               ; attention_fwd.py:44:39
	v_mul_lo_u32 v105, s6, v5
	s_delay_alu instid0(VALU_DEP_1) | instskip(NEXT) | instid1(VALU_DEP_1)
	.loc	1 44 21 is_stmt 0               ; attention_fwd.py:44:21
	v_ashrrev_i32_e32 v106, 31, v105
	v_lshlrev_b64 v[105:106], 1, v[105:106]
	s_delay_alu instid0(VALU_DEP_1) | instskip(NEXT) | instid1(VALU_DEP_1)
	v_add_co_u32 v5, vcc_lo, s4, v105
	v_add_co_ci_u32_e64 v106, null, s5, v106, vcc_lo
	s_delay_alu instid0(VALU_DEP_2) | instskip(NEXT) | instid1(VALU_DEP_1)
	.loc	1 44 51                         ; attention_fwd.py:44:51
	v_add_co_u32 v105, vcc_lo, v5, v3
	v_add_co_ci_u32_e64 v106, null, v106, v4, vcc_lo
	.loc	1 45 20 is_stmt 1               ; attention_fwd.py:45:20
	global_load_u16 v105, v[105:106], off
.LBB0_132:
	.loc	1 0 20 is_stmt 0                ; attention_fwd.py:0:20
	s_or_b32 exec_lo, exec_lo, s0
	v_mov_b32_e32 v5, 0
	v_mov_b32_e32 v109, 0
	.loc	1 45 20                         ; attention_fwd.py:45:20
	s_and_saveexec_b32 s0, s8
	s_cbranch_execz .LBB0_134
; %bb.133:
	.loc	1 44 39 is_stmt 1               ; attention_fwd.py:44:39
	v_mul_lo_u32 v106, s6, v6
	s_delay_alu instid0(VALU_DEP_1) | instskip(NEXT) | instid1(VALU_DEP_1)
	.loc	1 44 21 is_stmt 0               ; attention_fwd.py:44:21
	v_ashrrev_i32_e32 v107, 31, v106
	v_lshlrev_b64 v[106:107], 1, v[106:107]
	s_delay_alu instid0(VALU_DEP_1) | instskip(NEXT) | instid1(VALU_DEP_1)
	v_add_co_u32 v6, vcc_lo, s4, v106
	v_add_co_ci_u32_e64 v107, null, s5, v107, vcc_lo
	s_delay_alu instid0(VALU_DEP_2) | instskip(NEXT) | instid1(VALU_DEP_1)
	.loc	1 44 51                         ; attention_fwd.py:44:51
	v_add_co_u32 v106, vcc_lo, v6, v3
	v_add_co_ci_u32_e64 v107, null, v107, v4, vcc_lo
	.loc	1 45 20 is_stmt 1               ; attention_fwd.py:45:20
	global_load_u16 v109, v[106:107], off
.LBB0_134:
	.loc	1 0 20 is_stmt 0                ; attention_fwd.py:0:20
	s_or_b32 exec_lo, exec_lo, s0
	.loc	1 45 20                         ; attention_fwd.py:45:20
	s_and_saveexec_b32 s0, s9
	s_cbranch_execz .LBB0_136
; %bb.135:
	.loc	1 44 39 is_stmt 1               ; attention_fwd.py:44:39
	v_mul_lo_u32 v5, s6, v7
	s_delay_alu instid0(VALU_DEP_1) | instskip(NEXT) | instid1(VALU_DEP_1)
	.loc	1 44 21 is_stmt 0               ; attention_fwd.py:44:21
	v_ashrrev_i32_e32 v6, 31, v5
	v_lshlrev_b64 v[5:6], 1, v[5:6]
	s_delay_alu instid0(VALU_DEP_1) | instskip(NEXT) | instid1(VALU_DEP_1)
	v_add_co_u32 v5, vcc_lo, s4, v5
	v_add_co_ci_u32_e64 v6, null, s5, v6, vcc_lo
	s_delay_alu instid0(VALU_DEP_2) | instskip(NEXT) | instid1(VALU_DEP_1)
	.loc	1 44 51                         ; attention_fwd.py:44:51
	v_add_co_u32 v5, vcc_lo, v5, v3
	v_add_co_ci_u32_e64 v6, null, v6, v4, vcc_lo
	.loc	1 45 20 is_stmt 1               ; attention_fwd.py:45:20
	global_load_u16 v5, v[5:6], off
.LBB0_136:
	.loc	1 0 20 is_stmt 0                ; attention_fwd.py:0:20
	s_or_b32 exec_lo, exec_lo, s0
	v_dual_mov_b32 v7, 0 :: v_dual_mov_b32 v110, 0
	.loc	1 45 20                         ; attention_fwd.py:45:20
	s_and_saveexec_b32 s0, s10
	s_cbranch_execz .LBB0_138
; %bb.137:
	.loc	1 44 39 is_stmt 1               ; attention_fwd.py:44:39
	v_mul_lo_u32 v106, s6, v8
	s_delay_alu instid0(VALU_DEP_1) | instskip(NEXT) | instid1(VALU_DEP_1)
	.loc	1 44 21 is_stmt 0               ; attention_fwd.py:44:21
	v_ashrrev_i32_e32 v107, 31, v106
	v_lshlrev_b64 v[106:107], 1, v[106:107]
	s_delay_alu instid0(VALU_DEP_1) | instskip(NEXT) | instid1(VALU_DEP_1)
	v_add_co_u32 v6, vcc_lo, s4, v106
	v_add_co_ci_u32_e64 v8, null, s5, v107, vcc_lo
	s_delay_alu instid0(VALU_DEP_2) | instskip(NEXT) | instid1(VALU_DEP_1)
	.loc	1 44 51                         ; attention_fwd.py:44:51
	v_add_co_u32 v106, vcc_lo, v6, v3
	v_add_co_ci_u32_e64 v107, null, v8, v4, vcc_lo
	.loc	1 45 20 is_stmt 1               ; attention_fwd.py:45:20
	global_load_u16 v110, v[106:107], off
.LBB0_138:
	.loc	1 0 20 is_stmt 0                ; attention_fwd.py:0:20
	s_or_b32 exec_lo, exec_lo, s0
	.loc	1 45 20                         ; attention_fwd.py:45:20
	s_and_saveexec_b32 s0, s11
	s_cbranch_execz .LBB0_140
; %bb.139:
	.loc	1 44 39 is_stmt 1               ; attention_fwd.py:44:39
	v_mul_lo_u32 v6, s6, v9
	s_delay_alu instid0(VALU_DEP_1) | instskip(NEXT) | instid1(VALU_DEP_1)
	.loc	1 44 21 is_stmt 0               ; attention_fwd.py:44:21
	v_ashrrev_i32_e32 v7, 31, v6
	v_lshlrev_b64 v[6:7], 1, v[6:7]
	s_delay_alu instid0(VALU_DEP_1) | instskip(NEXT) | instid1(VALU_DEP_1)
	v_add_co_u32 v6, vcc_lo, s4, v6
	v_add_co_ci_u32_e64 v7, null, s5, v7, vcc_lo
	s_delay_alu instid0(VALU_DEP_2) | instskip(NEXT) | instid1(VALU_DEP_1)
	.loc	1 44 51                         ; attention_fwd.py:44:51
	v_add_co_u32 v6, vcc_lo, v6, v3
	v_add_co_ci_u32_e64 v7, null, v7, v4, vcc_lo
	.loc	1 45 20 is_stmt 1               ; attention_fwd.py:45:20
	global_load_u16 v7, v[6:7], off
.LBB0_140:
	.loc	1 0 20 is_stmt 0                ; attention_fwd.py:0:20
	s_or_b32 exec_lo, exec_lo, s0
	v_mov_b32_e32 v6, 0
	v_mov_b32_e32 v8, 0
	.loc	1 45 20                         ; attention_fwd.py:45:20
	s_and_saveexec_b32 s0, s12
	s_cbranch_execz .LBB0_142
; %bb.141:
	.loc	1 44 39 is_stmt 1               ; attention_fwd.py:44:39
	v_mul_lo_u32 v8, s6, v10
	s_delay_alu instid0(VALU_DEP_1) | instskip(NEXT) | instid1(VALU_DEP_1)
	.loc	1 44 21 is_stmt 0               ; attention_fwd.py:44:21
	v_ashrrev_i32_e32 v9, 31, v8
	v_lshlrev_b64 v[8:9], 1, v[8:9]
	s_delay_alu instid0(VALU_DEP_1) | instskip(NEXT) | instid1(VALU_DEP_1)
	v_add_co_u32 v8, vcc_lo, s4, v8
	v_add_co_ci_u32_e64 v9, null, s5, v9, vcc_lo
	s_delay_alu instid0(VALU_DEP_2) | instskip(NEXT) | instid1(VALU_DEP_1)
	.loc	1 44 51                         ; attention_fwd.py:44:51
	v_add_co_u32 v8, vcc_lo, v8, v3
	v_add_co_ci_u32_e64 v9, null, v9, v4, vcc_lo
	.loc	1 45 20 is_stmt 1               ; attention_fwd.py:45:20
	global_load_u16 v8, v[8:9], off
.LBB0_142:
	.loc	1 0 20 is_stmt 0                ; attention_fwd.py:0:20
	s_or_b32 exec_lo, exec_lo, s0
	.loc	1 45 20                         ; attention_fwd.py:45:20
	s_and_saveexec_b32 s0, s13
	s_cbranch_execz .LBB0_144
; %bb.143:
	.loc	1 44 39 is_stmt 1               ; attention_fwd.py:44:39
	v_mul_lo_u32 v9, s6, v11
	s_delay_alu instid0(VALU_DEP_1) | instskip(NEXT) | instid1(VALU_DEP_1)
	.loc	1 44 21 is_stmt 0               ; attention_fwd.py:44:21
	v_ashrrev_i32_e32 v10, 31, v9
	v_lshlrev_b64 v[9:10], 1, v[9:10]
	s_delay_alu instid0(VALU_DEP_1) | instskip(NEXT) | instid1(VALU_DEP_1)
	v_add_co_u32 v6, vcc_lo, s4, v9
	v_add_co_ci_u32_e64 v10, null, s5, v10, vcc_lo
	s_delay_alu instid0(VALU_DEP_2) | instskip(NEXT) | instid1(VALU_DEP_1)
	.loc	1 44 51                         ; attention_fwd.py:44:51
	v_add_co_u32 v9, vcc_lo, v6, v3
	v_add_co_ci_u32_e64 v10, null, v10, v4, vcc_lo
	.loc	1 45 20 is_stmt 1               ; attention_fwd.py:45:20
	global_load_u16 v6, v[9:10], off
.LBB0_144:
	.loc	1 0 20 is_stmt 0                ; attention_fwd.py:0:20
	s_or_b32 exec_lo, exec_lo, s0
	v_dual_mov_b32 v9, 0 :: v_dual_mov_b32 v10, 0
	.loc	1 45 20                         ; attention_fwd.py:45:20
	s_and_saveexec_b32 s0, s14
	s_cbranch_execz .LBB0_146
; %bb.145:
	.loc	1 44 39 is_stmt 1               ; attention_fwd.py:44:39
	v_mul_lo_u32 v10, s6, v12
	s_delay_alu instid0(VALU_DEP_1) | instskip(NEXT) | instid1(VALU_DEP_1)
	.loc	1 44 21 is_stmt 0               ; attention_fwd.py:44:21
	v_ashrrev_i32_e32 v11, 31, v10
	v_lshlrev_b64 v[10:11], 1, v[10:11]
	s_delay_alu instid0(VALU_DEP_1) | instskip(NEXT) | instid1(VALU_DEP_1)
	v_add_co_u32 v10, vcc_lo, s4, v10
	v_add_co_ci_u32_e64 v11, null, s5, v11, vcc_lo
	s_delay_alu instid0(VALU_DEP_2) | instskip(NEXT) | instid1(VALU_DEP_1)
	.loc	1 44 51                         ; attention_fwd.py:44:51
	v_add_co_u32 v10, vcc_lo, v10, v3
	v_add_co_ci_u32_e64 v11, null, v11, v4, vcc_lo
	.loc	1 45 20 is_stmt 1               ; attention_fwd.py:45:20
	global_load_u16 v10, v[10:11], off
.LBB0_146:
	.loc	1 0 20 is_stmt 0                ; attention_fwd.py:0:20
	s_or_b32 exec_lo, exec_lo, s0
	.loc	1 45 20                         ; attention_fwd.py:45:20
	s_and_saveexec_b32 s0, s15
	s_cbranch_execz .LBB0_148
; %bb.147:
	.loc	1 44 39 is_stmt 1               ; attention_fwd.py:44:39
	v_mul_lo_u32 v11, s6, v13
	s_delay_alu instid0(VALU_DEP_1) | instskip(NEXT) | instid1(VALU_DEP_1)
	.loc	1 44 21 is_stmt 0               ; attention_fwd.py:44:21
	v_ashrrev_i32_e32 v12, 31, v11
	v_lshlrev_b64 v[11:12], 1, v[11:12]
	s_delay_alu instid0(VALU_DEP_1) | instskip(NEXT) | instid1(VALU_DEP_1)
	v_add_co_u32 v9, vcc_lo, s4, v11
	v_add_co_ci_u32_e64 v12, null, s5, v12, vcc_lo
	s_delay_alu instid0(VALU_DEP_2) | instskip(NEXT) | instid1(VALU_DEP_1)
	.loc	1 44 51                         ; attention_fwd.py:44:51
	v_add_co_u32 v11, vcc_lo, v9, v3
	v_add_co_ci_u32_e64 v12, null, v12, v4, vcc_lo
	.loc	1 45 20 is_stmt 1               ; attention_fwd.py:45:20
	global_load_u16 v9, v[11:12], off
.LBB0_148:
	.loc	1 0 20 is_stmt 0                ; attention_fwd.py:0:20
	s_or_b32 exec_lo, exec_lo, s0
	v_dual_mov_b32 v11, 0 :: v_dual_mov_b32 v12, 0
	;; [unrolled: 45-line block ×12, first 2 shown]
	.loc	1 45 20                         ; attention_fwd.py:45:20
	s_and_saveexec_b32 s0, s37
	s_cbranch_execz .LBB0_190
; %bb.189:
	.loc	1 44 39 is_stmt 1               ; attention_fwd.py:44:39
	v_mul_lo_u32 v89, s6, v91
	s_delay_alu instid0(VALU_DEP_1) | instskip(NEXT) | instid1(VALU_DEP_1)
	.loc	1 44 21 is_stmt 0               ; attention_fwd.py:44:21
	v_ashrrev_i32_e32 v90, 31, v89
	v_lshlrev_b64 v[89:90], 1, v[89:90]
	s_delay_alu instid0(VALU_DEP_1) | instskip(NEXT) | instid1(VALU_DEP_1)
	v_add_co_u32 v89, vcc_lo, s4, v89
	v_add_co_ci_u32_e64 v90, null, s5, v90, vcc_lo
	s_delay_alu instid0(VALU_DEP_2) | instskip(NEXT) | instid1(VALU_DEP_1)
	.loc	1 44 51                         ; attention_fwd.py:44:51
	v_add_co_u32 v89, vcc_lo, v89, v3
	v_add_co_ci_u32_e64 v90, null, v90, v4, vcc_lo
	.loc	1 45 20 is_stmt 1               ; attention_fwd.py:45:20
	global_load_u16 v89, v[89:90], off
.LBB0_190:
	.loc	1 0 20 is_stmt 0                ; attention_fwd.py:0:20
	s_or_b32 exec_lo, exec_lo, s0
	.loc	1 45 20                         ; attention_fwd.py:45:20
	s_and_saveexec_b32 s0, s38
	s_cbranch_execz .LBB0_192
; %bb.191:
	.loc	1 44 39 is_stmt 1               ; attention_fwd.py:44:39
	v_mul_lo_u32 v90, s6, v93
	s_delay_alu instid0(VALU_DEP_1) | instskip(NEXT) | instid1(VALU_DEP_1)
	.loc	1 44 21 is_stmt 0               ; attention_fwd.py:44:21
	v_ashrrev_i32_e32 v91, 31, v90
	v_lshlrev_b64 v[90:91], 1, v[90:91]
	s_delay_alu instid0(VALU_DEP_1) | instskip(NEXT) | instid1(VALU_DEP_1)
	v_add_co_u32 v72, vcc_lo, s4, v90
	v_add_co_ci_u32_e64 v91, null, s5, v91, vcc_lo
	s_delay_alu instid0(VALU_DEP_2) | instskip(NEXT) | instid1(VALU_DEP_1)
	.loc	1 44 51                         ; attention_fwd.py:44:51
	v_add_co_u32 v90, vcc_lo, v72, v3
	v_add_co_ci_u32_e64 v91, null, v91, v4, vcc_lo
	.loc	1 45 20 is_stmt 1               ; attention_fwd.py:45:20
	global_load_u16 v72, v[90:91], off
.LBB0_192:
	.loc	1 0 20 is_stmt 0                ; attention_fwd.py:0:20
	s_or_b32 exec_lo, exec_lo, s0
	.loc	1 45 20                         ; attention_fwd.py:45:20
	v_lshlrev_b32_e32 v93, 1, v0
                                        ; implicit-def: $vgpr255 : SGPR spill to VGPR lane
	.loc	1 17 46 is_stmt 1               ; attention_fwd.py:17:46
	v_lshrrev_b32_e32 v90, 1, v95
	s_load_b64 s[68:69], s[42:43], 0x18
	v_writelane_b32 v255, s42, 0
	s_load_b32 s102, s[42:43], 0x20
	.loc	1 45 20                         ; attention_fwd.py:45:20
	v_add_nc_u32_e32 v106, 0, v93
	.loc	1 17 33                         ; attention_fwd.py:17:33
	v_or3_b32 v114, v25, v90, s41
	.loc	1 45 20                         ; attention_fwd.py:45:20
	s_waitcnt vmcnt(0) lgkmcnt(0)
	v_or_b32_e32 v90, 0x700, v93
	s_barrier
	buffer_gl0_inv
	ds_store_b16 v106, v108
	ds_store_b16 v106, v105 offset:256
	ds_store_b16 v106, v109 offset:512
	;; [unrolled: 1-line block ×7, first 2 shown]
	v_or_b32_e32 v5, 0x1700, v93
	.loc	1 17 46                         ; attention_fwd.py:17:46
	v_lshrrev_b32_e32 v91, 4, v0
	.loc	1 45 20                         ; attention_fwd.py:45:20
	v_add_nc_u32_e32 v107, 0, v90
	v_or_b32_e32 v90, 0xf00, v93
	v_writelane_b32 v255, s43, 1
	v_add_nc_u32_e32 v110, 0, v5
	v_or_b32_e32 v5, 0x1f00, v93
	.loc	1 17 46                         ; attention_fwd.py:17:46
	v_bfe_u32 v112, v0, 4, 1
	v_or_b32_e32 v113, 62, v91
	.loc	1 45 20                         ; attention_fwd.py:45:20
	v_add_nc_u32_e32 v108, 0, v90
	v_or_b32_e32 v105, v94, v92
	v_add_nc_u32_e32 v111, 0, v5
	v_lshl_add_u32 v115, v25, 1, 0
	v_and_b32_e32 v7, 16, v0
	s_mov_b32 s36, 0
	.loc	1 31 32                         ; attention_fwd.py:31:32
	s_cmp_lt_i32 s41, 1
	.loc	1 45 20                         ; attention_fwd.py:45:20
	ds_store_b16 v106, v9 offset:2304
	ds_store_b16 v106, v12 offset:2560
	;; [unrolled: 1-line block ×19, first 2 shown]
	ds_store_b16 v107, v6
	ds_store_b16 v108, v15
	;; [unrolled: 1-line block ×3, first 2 shown]
	ds_store_b16 v106, v89 offset:7680
	ds_store_b16 v111, v72
	.loc	1 31 32                         ; attention_fwd.py:31:32
	scratch_store_b32 off, v7, off offset:244 ; 4-byte Folded Spill
	s_cbranch_scc1 .LBB0_324
; %bb.193:                              ; %.lr.ph
	.loc	1 0 32 is_stmt 0                ; attention_fwd.py:0:32
	v_mov_b32_e32 v0, 0x5410
	v_mov_b32_e32 v5, 0x7632
	v_cmp_eq_u32_e32 vcc_lo, 0, v7
	.loc	1 31 32                         ; attention_fwd.py:31:32
	v_or_b32_e32 v7, 0x7e, v99
	v_writelane_b32 v255, s41, 2
	s_lshl_b32 s0, s6, 6
	v_xor_b32_e32 v6, 0x50, v105
	v_cndmask_b32_e32 v0, 0x1054, v0, vcc_lo
	v_cndmask_b32_e32 v5, 0x3276, v5, vcc_lo
	v_add_co_u32 v116, vcc_lo, s2, v1
	s_delay_alu instid0(VALU_DEP_1) | instskip(SKIP_2) | instid1(VALU_DEP_1)
	v_add_co_ci_u32_e64 v117, null, s3, v2, vcc_lo
	v_xor_b32_e32 v2, 16, v105
	v_add_co_u32 v118, vcc_lo, s4, v3
	v_add_co_ci_u32_e64 v119, null, s5, v4, vcc_lo
	s_delay_alu instid0(VALU_DEP_3)
	v_add_nc_u32_e32 v186, 0, v2
	v_lshl_or_b32 v1, v5, 8, v5
	v_xor_b32_e32 v5, 64, v105
	v_xor_b32_e32 v3, 32, v105
	;; [unrolled: 1-line block ×4, first 2 shown]
	v_and_b32_e32 v1, 0x760076, v1
	v_add_nc_u32_e32 v189, 0, v5
	v_lshl_or_b32 v0, v0, 8, v0
	v_xor_b32_e32 v9, 0x70, v105
	v_writelane_b32 v255, s0, 3
	v_lshl_or_b32 v1, v1, 4, v1
	s_lshl_b32 s0, s1, 6
	v_and_b32_e32 v0, 0x540054, v0
	v_dual_mov_b32 v72, 0xff800000 :: v_dual_add_nc_u32 v191, 0, v8
	s_delay_alu instid0(VALU_DEP_3) | instskip(SKIP_1) | instid1(VALU_DEP_4)
	v_and_b32_e32 v121, 0x7060706, v1
	v_mul_lo_u32 v1, s1, v7
	v_lshl_or_b32 v0, v0, 4, v0
	v_writelane_b32 v255, s0, 4
	v_add_nc_u32_e32 v187, 0, v3
	s_mov_b32 s37, s36
	s_mov_b32 s38, s36
	v_and_b32_e32 v120, 0x5040504, v0
	v_mul_lo_u32 v0, s6, v7
	s_mov_b32 s39, s36
	s_mov_b32 s40, s36
	;; [unrolled: 1-line block ×5, first 2 shown]
	s_mov_b32 vcc_hi, 0x76543210
	s_mov_b32 s98, s36
	scratch_store_b32 off, v0, off          ; 4-byte Folded Spill
	v_or_b32_e32 v0, 0x7c, v99
	s_mov_b32 s99, s36
	s_mov_b32 s103, s36
	s_delay_alu instid0(VALU_DEP_1)
	v_mul_lo_u32 v7, s6, v0
	v_mul_lo_u32 v0, s1, v0
	scratch_store_b32 off, v1, off offset:4 ; 4-byte Folded Spill
	v_or_b32_e32 v1, 0x7a, v99
	s_clause 0x1                            ; 8-byte Folded Spill
	scratch_store_b32 off, v7, off offset:8
	scratch_store_b32 off, v0, off offset:12
	v_mul_lo_u32 v0, s6, v1
	v_mul_lo_u32 v1, s1, v1
	v_or_b32_e32 v7, 0x78, v99
	s_clause 0x1                            ; 8-byte Folded Spill
	scratch_store_b32 off, v0, off offset:16
	scratch_store_b32 off, v1, off offset:20
	v_mul_lo_u32 v1, s6, v7
	v_mul_lo_u32 v7, s1, v7
	;; [unrolled: 6-line block ×25, first 2 shown]
	v_or_b32_e32 v7, 0x48, v99
	s_clause 0x1                            ; 8-byte Folded Spill
	scratch_store_b32 off, v0, off offset:208
	scratch_store_b32 off, v1, off offset:212
	v_mul_lo_u32 v1, s6, v7
	v_or_b32_e32 v0, 0x46, v99
	scratch_store_b32 off, v1, off offset:216 ; 4-byte Folded Spill
	v_mul_lo_u32 v1, s1, v7
	v_mul_lo_u32 v7, s6, v0
	;; [unrolled: 1-line block ×3, first 2 shown]
	s_clause 0x1                            ; 8-byte Folded Spill
	scratch_store_b32 off, v1, off offset:220
	scratch_store_b32 off, v7, off offset:224
	v_or_b32_e32 v1, 0x44, v99
	v_or_b32_e32 v7, 0x42, v99
	s_delay_alu instid0(VALU_DEP_2)
	v_mul_lo_u32 v10, s6, v1
	v_mul_lo_u32 v1, s1, v1
	scratch_store_b32 off, v0, off offset:228 ; 4-byte Folded Spill
	v_or_b32_e32 v0, 64, v99
	v_mul_lo_u32 v183, s1, v7
	s_clause 0x1                            ; 8-byte Folded Spill
	scratch_store_b32 off, v10, off offset:232
	scratch_store_b32 off, v1, off offset:236
	v_mul_lo_u32 v1, s6, v7
	v_mul_lo_u32 v184, s6, v0
	v_mul_lo_u32 v185, s1, v0
	v_mov_b32_e32 v0, 0
	v_add_nc_u32_e32 v188, 0, v4
	v_add_nc_u32_e32 v190, 0, v6
	s_delay_alu instid0(VALU_DEP_3)
	v_dual_mov_b32 v7, v0 :: v_dual_add_nc_u32 v192, 0, v9
	scratch_store_b32 off, v1, off offset:240 ; 4-byte Folded Spill
	v_mov_b32_e32 v1, v0
	v_mov_b32_e32 v2, v0
	;; [unrolled: 1-line block ×31, first 2 shown]
	s_branch .LBB0_195
.LBB0_194:                              ;   in Loop: Header=BB0_195 Depth=1
	.loc	1 0 32                          ; attention_fwd.py:0:32
	s_or_b32 exec_lo, exec_lo, s1
	.loc	1 46 27 is_stmt 1               ; attention_fwd.py:46:27
	v_lshrrev_b32_e32 v73, 16, v65
	v_cmp_o_f32_e32 vcc_lo, v65, v65
	v_cmp_o_f32_e64 s2, v64, v64
	.loc	1 31 32                         ; attention_fwd.py:31:32
	v_readlane_b32 s0, v255, 3
	s_add_i32 s103, s103, 64
	.loc	1 46 27                         ; attention_fwd.py:46:27
	v_and_b32_e32 v73, 1, v73
	.loc	1 41 29                         ; attention_fwd.py:41:29
	v_sub_f32_e32 v72, v72, v109
	.loc	1 31 32                         ; attention_fwd.py:31:32
	s_add_i32 s99, s99, s0
	v_readlane_b32 s0, v255, 4
	s_delay_alu instid0(VALU_DEP_3) | instskip(SKIP_2) | instid1(VALU_DEP_2)
	.loc	1 46 27                         ; attention_fwd.py:46:27
	v_add3_u32 v73, v65, v73, 0x7fff
	v_lshrrev_b32_e32 v65, 16, v64
	.loc	1 31 32                         ; attention_fwd.py:31:32
	s_add_i32 s98, s98, s0
	.loc	1 46 27                         ; attention_fwd.py:46:27
	v_lshrrev_b32_e32 v73, 16, v73
	s_delay_alu instid0(VALU_DEP_2) | instskip(SKIP_1) | instid1(VALU_DEP_2)
	v_and_b32_e32 v65, 1, v65
	.loc	1 31 32                         ; attention_fwd.py:31:32
	v_readlane_b32 s0, v255, 2
	.loc	1 46 27                         ; attention_fwd.py:46:27
	v_add3_u32 v65, v64, v65, 0x7fff
	.loc	1 31 32                         ; attention_fwd.py:31:32
	s_cmp_lt_i32 s103, s0
	s_delay_alu instid0(VALU_DEP_1) | instskip(NEXT) | instid1(VALU_DEP_1)
	.loc	1 46 27                         ; attention_fwd.py:46:27
	v_lshrrev_b32_e32 v65, 16, v65
	v_cndmask_b32_e64 v64, 0x7fff, v65, s2
	v_cndmask_b32_e32 v65, 0x7fff, v73, vcc_lo
	v_cmp_o_f32_e32 vcc_lo, v67, v67
	v_cmp_o_f32_e64 s2, v66, v66
	s_delay_alu instid0(VALU_DEP_3) | instskip(NEXT) | instid1(VALU_DEP_1)
	v_perm_b32 v65, v65, v64, 0x5040100
	v_permlanex16_b32 v73, v65, vcc_hi, 0xfedcba98 op_sel:[1,0]
	s_delay_alu instid0(VALU_DEP_1) | instskip(SKIP_2) | instid1(VALU_DEP_1)
	v_perm_b32 v64, v73, v65, v120
	v_perm_b32 v65, v73, v65, v121
	v_lshrrev_b32_e32 v73, 16, v67
	v_and_b32_e32 v73, 1, v73
	s_delay_alu instid0(VALU_DEP_1) | instskip(SKIP_1) | instid1(VALU_DEP_2)
	v_add3_u32 v73, v67, v73, 0x7fff
	v_lshrrev_b32_e32 v67, 16, v66
	v_lshrrev_b32_e32 v73, 16, v73
	s_delay_alu instid0(VALU_DEP_2) | instskip(NEXT) | instid1(VALU_DEP_1)
	v_and_b32_e32 v67, 1, v67
	v_add3_u32 v67, v66, v67, 0x7fff
	s_delay_alu instid0(VALU_DEP_1) | instskip(NEXT) | instid1(VALU_DEP_1)
	v_lshrrev_b32_e32 v67, 16, v67
	v_cndmask_b32_e64 v66, 0x7fff, v67, s2
	v_cndmask_b32_e32 v67, 0x7fff, v73, vcc_lo
	v_cmp_o_f32_e32 vcc_lo, v69, v69
	v_cmp_o_f32_e64 s2, v68, v68
	s_delay_alu instid0(VALU_DEP_3) | instskip(NEXT) | instid1(VALU_DEP_1)
	v_perm_b32 v67, v67, v66, 0x5040100
	v_permlanex16_b32 v73, v67, vcc_hi, 0xfedcba98 op_sel:[1,0]
	s_delay_alu instid0(VALU_DEP_1) | instskip(SKIP_2) | instid1(VALU_DEP_1)
	v_perm_b32 v66, v73, v67, v120
	v_perm_b32 v67, v73, v67, v121
	v_lshrrev_b32_e32 v73, 16, v69
	v_and_b32_e32 v73, 1, v73
	s_delay_alu instid0(VALU_DEP_1) | instskip(SKIP_1) | instid1(VALU_DEP_2)
	v_add3_u32 v73, v69, v73, 0x7fff
	v_lshrrev_b32_e32 v69, 16, v68
	v_lshrrev_b32_e32 v73, 16, v73
	s_delay_alu instid0(VALU_DEP_2) | instskip(NEXT) | instid1(VALU_DEP_1)
	v_and_b32_e32 v69, 1, v69
	v_add3_u32 v69, v68, v69, 0x7fff
	s_delay_alu instid0(VALU_DEP_1) | instskip(NEXT) | instid1(VALU_DEP_1)
	;; [unrolled: 21-line block ×3, first 2 shown]
	v_lshrrev_b32_e32 v71, 16, v71
	v_cndmask_b32_e64 v70, 0x7fff, v71, s2
	v_cndmask_b32_e32 v71, 0x7fff, v73, vcc_lo
	v_cmp_o_f32_e64 s2, v241, v241
	s_delay_alu instid0(VALU_DEP_2) | instskip(NEXT) | instid1(VALU_DEP_1)
	v_perm_b32 v71, v71, v70, 0x5040100
	v_permlanex16_b32 v73, v71, vcc_hi, 0xfedcba98 op_sel:[1,0]
	s_delay_alu instid0(VALU_DEP_1) | instskip(SKIP_2) | instid1(VALU_DEP_1)
	v_perm_b32 v70, v73, v71, v120
	v_perm_b32 v71, v73, v71, v121
	.loc	1 41 23                         ; attention_fwd.py:41:23
	v_mul_f32_e32 v73, 0x3fb8aa3b, v72
	v_cmp_gt_f32_e32 vcc_lo, 0xc2fc0000, v73
	v_cndmask_b32_e64 v73, 0, 0x42800000, vcc_lo
	s_delay_alu instid0(VALU_DEP_1) | instskip(NEXT) | instid1(VALU_DEP_1)
	v_fmac_f32_e32 v73, 0x3fb8aa3b, v72
	v_exp_f32_e32 v72, v73
	v_cndmask_b32_e64 v73, 0, 0xffffffc0, vcc_lo
	.loc	1 46 27                         ; attention_fwd.py:46:27
	v_cmp_o_f32_e32 vcc_lo, v244, v244
	.loc	1 41 23                         ; attention_fwd.py:41:23
	s_waitcnt_depctr depctr_va_vdst(0)
	v_ldexp_f32 v150, v72, v73
	.loc	1 45 20                         ; attention_fwd.py:45:20
	ds_load_u16 v74, v115 offset:608
	ds_load_u16 v73, v115 offset:352
	;; [unrolled: 1-line block ×3, first 2 shown]
	ds_load_u16 v91, v115
	ds_load_u16 v92, v115 offset:256
	ds_load_u16 v94, v115 offset:768
	;; [unrolled: 1-line block ×13, first 2 shown]
	s_waitcnt lgkmcnt(15)
	ds_load_u16_d16_hi v73, v115 offset:480
	ds_load_u16 v72, v115 offset:96
	ds_load_u16 v88, v115 offset:32
	;; [unrolled: 1-line block ×3, first 2 shown]
	s_waitcnt lgkmcnt(17)
	ds_load_u16_d16_hi v91, v115 offset:128
	s_waitcnt lgkmcnt(17)
	ds_load_u16_d16_hi v92, v115 offset:384
	ds_load_u16_d16_hi v93, v115 offset:640
	s_waitcnt lgkmcnt(17)
	ds_load_u16_d16_hi v82, v115 offset:704
	;; [unrolled: 3-line block ×3, first 2 shown]
	s_waitcnt lgkmcnt(18)
	ds_load_u16_d16_hi v95, v115 offset:1152
	s_waitcnt lgkmcnt(18)
	ds_load_u16_d16_hi v84, v115 offset:1216
	;; [unrolled: 2-line block ×5, first 2 shown]
	ds_load_u16 v87, v115 offset:1856
	s_waitcnt lgkmcnt(19)
	ds_load_u16_d16_hi v86, v115 offset:1728
	s_waitcnt lgkmcnt(19)
	ds_load_u16_d16_hi v98, v115 offset:1920
	;; [unrolled: 2-line block ×3, first 2 shown]
	ds_load_u16_d16_hi v80, v115 offset:192
	ds_load_u16_d16_hi v72, v115 offset:224
	ds_load_u16 v90, v115 offset:544
	s_waitcnt lgkmcnt(18)
	ds_load_u16_d16_hi v89, v115 offset:416
	ds_load_u16_d16_hi v81, v115 offset:448
	ds_load_u16 v75, v115 offset:864
	ds_load_u16 v76, v115 offset:1120
	;; [unrolled: 1-line block ×4, first 2 shown]
	s_waitcnt lgkmcnt(12)
	ds_load_u16_d16_hi v87, v115 offset:1984
	ds_load_u16 v151, v115 offset:2048
	ds_load_u16 v159, v115 offset:2112
	;; [unrolled: 1-line block ×3, first 2 shown]
	.loc	1 43 20                         ; attention_fwd.py:43:20
	v_mul_f32_e32 v0, v0, v150
	v_mul_f32_e32 v1, v1, v150
	;; [unrolled: 1-line block ×8, first 2 shown]
	.loc	1 45 20                         ; attention_fwd.py:45:20
	s_waitcnt lgkmcnt(0)
	ds_load_u16_d16_hi v79, v115 offset:2016
	ds_load_u16 v160, v115 offset:2368
	ds_load_u16_d16_hi v159, v115 offset:2240
	ds_load_u16 v167, v115 offset:2080
	ds_load_u16 v175, v115 offset:2144
	.loc	1 46 37                         ; attention_fwd.py:46:37
	v_wmma_f32_16x16x16_bf16 v[0:7], v[91:98], v[64:71], v[0:7]
	.loc	1 45 20                         ; attention_fwd.py:45:20
	ds_load_u16 v91, v115 offset:800
	ds_load_u16 v92, v115 offset:1056
	;; [unrolled: 1-line block ×5, first 2 shown]
	ds_load_u16_d16_hi v90, v115 offset:672
	ds_load_u16_d16_hi v74, v115 offset:736
	s_waitcnt lgkmcnt(6)
	ds_load_u16_d16_hi v91, v115 offset:928
	ds_load_u16_d16_hi v75, v115 offset:992
	s_waitcnt lgkmcnt(7)
	ds_load_u16_d16_hi v92, v115 offset:1184
	ds_load_u16_d16_hi v76, v115 offset:1248
	s_waitcnt lgkmcnt(8)
	ds_load_u16_d16_hi v93, v115 offset:1440
	ds_load_u16_d16_hi v77, v115 offset:1504
	s_waitcnt lgkmcnt(9)
	ds_load_u16_d16_hi v94, v115 offset:1696
	ds_load_u16_d16_hi v78, v115 offset:1760
	s_waitcnt lgkmcnt(10)
	ds_load_u16_d16_hi v95, v115 offset:1952
	.loc	1 43 20                         ; attention_fwd.py:43:20
	v_mul_f32_e32 v8, v8, v150
	v_mul_f32_e32 v9, v9, v150
	;; [unrolled: 1-line block ×24, first 2 shown]
	.loc	1 46 37                         ; attention_fwd.py:46:37
	s_waitcnt lgkmcnt(0)
	v_wmma_f32_16x16x16_bf16 v[8:15], v[88:95], v[64:71], v[8:15]
	v_wmma_f32_16x16x16_bf16 v[16:23], v[80:87], v[64:71], v[16:23]
	.loc	1 45 20                         ; attention_fwd.py:45:20
	ds_load_u16 v153, v115 offset:2560
	ds_load_u16 v161, v115 offset:2624
	;; [unrolled: 1-line block ×12, first 2 shown]
	ds_load_u16_d16_hi v151, v115 offset:2176
	ds_load_u16_d16_hi v160, v115 offset:2496
	s_waitcnt lgkmcnt(13)
	ds_load_u16_d16_hi v153, v115 offset:2688
	s_waitcnt lgkmcnt(13)
	;; [unrolled: 2-line block ×8, first 2 shown]
	ds_load_u16_d16_hi v164, v115 offset:3520
	ds_load_u16 v166, v115 offset:3904
	s_waitcnt lgkmcnt(14)
	ds_load_u16_d16_hi v157, v115 offset:3712
	s_waitcnt lgkmcnt(14)
	ds_load_u16_d16_hi v165, v115 offset:3776
	s_waitcnt lgkmcnt(14)
	ds_load_u16_d16_hi v158, v115 offset:3968
	s_waitcnt lgkmcnt(14)
	ds_load_u16_d16_hi v152, v115 offset:2432
	ds_load_u16 v176, v115 offset:2400
	ds_load_u16 v177, v115 offset:2656
	;; [unrolled: 1-line block ×6, first 2 shown]
	.loc	1 46 37                         ; attention_fwd.py:46:37
	v_wmma_f32_16x16x16_bf16 v[24:31], v[72:79], v[64:71], v[24:31]
	.loc	1 46 27 is_stmt 0               ; attention_fwd.py:46:27
	v_lshrrev_b32_e32 v64, 16, v244
	v_lshrrev_b32_e32 v65, 16, v241
	;; [unrolled: 1-line block ×5, first 2 shown]
	v_and_b32_e32 v64, 1, v64
	v_and_b32_e32 v65, 1, v65
	v_and_b32_e32 v67, 1, v67
	v_and_b32_e32 v71, 1, v71
	v_and_b32_e32 v69, 1, v69
	v_add3_u32 v64, v244, v64, 0x7fff
	v_add3_u32 v65, v241, v65, 0x7fff
	;; [unrolled: 1-line block ×5, first 2 shown]
	v_lshrrev_b32_e32 v64, 16, v64
	v_lshrrev_b32_e32 v65, 16, v65
	;; [unrolled: 1-line block ×5, first 2 shown]
	v_cndmask_b32_e32 v64, 0x7fff, v64, vcc_lo
	v_cndmask_b32_e64 v65, 0x7fff, v65, s2
	v_cmp_o_f32_e32 vcc_lo, v122, v122
	v_cmp_o_f32_e64 s2, v246, v246
	.loc	1 45 20 is_stmt 1               ; attention_fwd.py:45:20
	ds_load_u16 v168, v115 offset:2336
	ds_load_u16 v169, v115 offset:2592
	;; [unrolled: 1-line block ×7, first 2 shown]
	ds_load_u16_d16_hi v167, v115 offset:2208
	ds_load_u16_d16_hi v175, v115 offset:2272
	v_mov_b32_e32 v97, v202
	.loc	1 46 27                         ; attention_fwd.py:46:27
	v_perm_b32 v65, v64, v65, 0x5040100
	v_mov_b32_e32 v98, v206
	v_cndmask_b32_e64 v67, 0x7fff, v67, s2
	v_cmp_o_f32_e64 s2, v253, v253
	v_mov_b32_e32 v96, v198
	v_permlanex16_b32 v66, v65, vcc_hi, 0xfedcba98 op_sel:[1,0]
	s_delay_alu instid0(VALU_DEP_3) | instskip(SKIP_1) | instid1(VALU_DEP_3)
	v_cndmask_b32_e64 v69, 0x7fff, v69, s2
	v_cmp_o_f32_e64 s2, v104, v104
	v_perm_b32 v64, v66, v65, v120
	v_perm_b32 v65, v66, v65, v121
	v_lshrrev_b32_e32 v66, 16, v122
	v_mov_b32_e32 v104, v210
	v_cndmask_b32_e64 v71, 0x7fff, v71, s2
	v_cmp_o_f32_e64 s2, v245, v245
	s_delay_alu instid0(VALU_DEP_4) | instskip(NEXT) | instid1(VALU_DEP_1)
	v_and_b32_e32 v66, 1, v66
	v_add3_u32 v66, v122, v66, 0x7fff
	v_mov_b32_e32 v122, v214
	s_delay_alu instid0(VALU_DEP_2) | instskip(NEXT) | instid1(VALU_DEP_1)
	v_lshrrev_b32_e32 v66, 16, v66
	v_cndmask_b32_e32 v66, 0x7fff, v66, vcc_lo
	v_cmp_o_f32_e32 vcc_lo, v123, v123
	s_delay_alu instid0(VALU_DEP_2) | instskip(NEXT) | instid1(VALU_DEP_1)
	v_perm_b32 v67, v66, v67, 0x5040100
	v_permlanex16_b32 v68, v67, vcc_hi, 0xfedcba98 op_sel:[1,0]
	s_delay_alu instid0(VALU_DEP_1) | instskip(SKIP_2) | instid1(VALU_DEP_1)
	v_perm_b32 v66, v68, v67, v120
	v_perm_b32 v67, v68, v67, v121
	v_lshrrev_b32_e32 v68, 16, v123
	v_and_b32_e32 v68, 1, v68
	s_delay_alu instid0(VALU_DEP_1) | instskip(SKIP_1) | instid1(VALU_DEP_2)
	v_add3_u32 v68, v123, v68, 0x7fff
	v_mov_b32_e32 v123, v218
	v_lshrrev_b32_e32 v68, 16, v68
	s_delay_alu instid0(VALU_DEP_1) | instskip(SKIP_1) | instid1(VALU_DEP_2)
	v_cndmask_b32_e32 v68, 0x7fff, v68, vcc_lo
	v_cmp_o_f32_e32 vcc_lo, v132, v132
	v_perm_b32 v69, v68, v69, 0x5040100
	s_delay_alu instid0(VALU_DEP_1) | instskip(NEXT) | instid1(VALU_DEP_1)
	v_permlanex16_b32 v70, v69, vcc_hi, 0xfedcba98 op_sel:[1,0]
	v_perm_b32 v68, v70, v69, v120
	v_perm_b32 v69, v70, v69, v121
	v_lshrrev_b32_e32 v70, 16, v132
	s_delay_alu instid0(VALU_DEP_1) | instskip(NEXT) | instid1(VALU_DEP_1)
	v_and_b32_e32 v70, 1, v70
	v_add3_u32 v70, v132, v70, 0x7fff
	s_delay_alu instid0(VALU_DEP_1) | instskip(NEXT) | instid1(VALU_DEP_1)
	v_lshrrev_b32_e32 v70, 16, v70
	v_cndmask_b32_e32 v70, 0x7fff, v70, vcc_lo
	v_cmp_o_f32_e32 vcc_lo, v249, v249
	s_delay_alu instid0(VALU_DEP_2) | instskip(NEXT) | instid1(VALU_DEP_1)
	v_perm_b32 v71, v70, v71, 0x5040100
	v_permlanex16_b32 v72, v71, vcc_hi, 0xfedcba98 op_sel:[1,0]
	s_delay_alu instid0(VALU_DEP_1)
	v_perm_b32 v70, v72, v71, v120
	v_perm_b32 v71, v72, v71, v121
	.loc	1 45 20                         ; attention_fwd.py:45:20
	s_waitcnt lgkmcnt(19)
	ds_load_u16_d16_hi v166, v115 offset:4032
	ds_load_u16 v72, v115 offset:4096
	ds_load_u16 v80, v115 offset:4160
	;; [unrolled: 1-line block ×3, first 2 shown]
	.loc	1 46 37                         ; attention_fwd.py:46:37
	s_waitcnt lgkmcnt(19)
	v_wmma_f32_16x16x16_bf16 v[0:7], v[151:158], v[64:71], v[0:7]
	.loc	1 45 20                         ; attention_fwd.py:45:20
	s_waitcnt lgkmcnt(12)
	ds_load_u16_d16_hi v168, v115 offset:2464
	ds_load_u16_d16_hi v176, v115 offset:2528
	s_waitcnt lgkmcnt(13)
	ds_load_u16_d16_hi v169, v115 offset:2720
	ds_load_u16_d16_hi v177, v115 offset:2784
	;; [unrolled: 3-line block ×6, first 2 shown]
	s_waitcnt lgkmcnt(18)
	ds_load_u16_d16_hi v174, v115 offset:4000
	s_waitcnt lgkmcnt(13)
	ds_load_u16_d16_hi v182, v115 offset:4064
	ds_load_u16 v81, v115 offset:4416
	ds_load_u16_d16_hi v80, v115 offset:4288
	ds_load_u16 v88, v115 offset:4128
	ds_load_u16 v151, v115 offset:4192
	.loc	1 46 37                         ; attention_fwd.py:46:37
	v_wmma_f32_16x16x16_bf16 v[16:23], v[159:166], v[64:71], v[16:23]
	.loc	1 45 20                         ; attention_fwd.py:45:20
	ds_load_u16 v89, v115 offset:4384
	ds_load_u16 v90, v115 offset:4640
	;; [unrolled: 1-line block ×7, first 2 shown]
	s_waitcnt lgkmcnt(8)
	ds_load_u16_d16_hi v88, v115 offset:4256
	s_waitcnt lgkmcnt(8)
	ds_load_u16_d16_hi v151, v115 offset:4320
	.loc	1 46 37                         ; attention_fwd.py:46:37
	v_wmma_f32_16x16x16_bf16 v[8:15], v[167:174], v[64:71], v[8:15]
	v_wmma_f32_16x16x16_bf16 v[24:31], v[175:182], v[64:71], v[24:31]
	.loc	1 46 27 is_stmt 0               ; attention_fwd.py:46:27
	v_lshrrev_b32_e32 v64, 16, v249
	v_lshrrev_b32_e32 v65, 16, v245
	;; [unrolled: 1-line block ×5, first 2 shown]
	v_and_b32_e32 v64, 1, v64
	v_and_b32_e32 v65, 1, v65
	s_delay_alu instid0(VALU_DEP_3) | instskip(NEXT) | instid1(VALU_DEP_3)
	v_and_b32_e32 v71, 1, v71
	v_add3_u32 v64, v249, v64, 0x7fff
	s_delay_alu instid0(VALU_DEP_3) | instskip(NEXT) | instid1(VALU_DEP_3)
	v_add3_u32 v65, v245, v65, 0x7fff
	v_add3_u32 v71, v254, v71, 0x7fff
	s_delay_alu instid0(VALU_DEP_3) | instskip(NEXT) | instid1(VALU_DEP_3)
	v_lshrrev_b32_e32 v64, 16, v64
	v_lshrrev_b32_e32 v65, 16, v65
	s_delay_alu instid0(VALU_DEP_3) | instskip(NEXT) | instid1(VALU_DEP_3)
	v_lshrrev_b32_e32 v71, 16, v71
	v_cndmask_b32_e32 v64, 0x7fff, v64, vcc_lo
	s_delay_alu instid0(VALU_DEP_3) | instskip(SKIP_2) | instid1(VALU_DEP_3)
	v_cndmask_b32_e64 v65, 0x7fff, v65, s2
	v_cmp_o_f32_e32 vcc_lo, v250, v250
	v_cmp_o_f32_e64 s2, v247, v247
	v_perm_b32 v65, v64, v65, 0x5040100
	s_delay_alu instid0(VALU_DEP_1) | instskip(NEXT) | instid1(VALU_DEP_1)
	v_permlanex16_b32 v66, v65, vcc_hi, 0xfedcba98 op_sel:[1,0]
	v_perm_b32 v64, v66, v65, v120
	v_perm_b32 v65, v66, v65, v121
	v_lshrrev_b32_e32 v66, 16, v250
	s_delay_alu instid0(VALU_DEP_1) | instskip(NEXT) | instid1(VALU_DEP_1)
	v_and_b32_e32 v66, 1, v66
	v_add3_u32 v66, v250, v66, 0x7fff
	s_delay_alu instid0(VALU_DEP_1) | instskip(NEXT) | instid1(VALU_DEP_1)
	v_lshrrev_b32_e32 v66, 16, v66
	v_dual_cndmask_b32 v66, 0x7fff, v66 :: v_dual_and_b32 v67, 1, v67
	s_delay_alu instid0(VALU_DEP_1) | instskip(SKIP_1) | instid1(VALU_DEP_2)
	v_add3_u32 v67, v247, v67, 0x7fff
	v_cmp_o_f32_e32 vcc_lo, v124, v124
	v_lshrrev_b32_e32 v67, 16, v67
	s_delay_alu instid0(VALU_DEP_1) | instskip(SKIP_1) | instid1(VALU_DEP_2)
	v_cndmask_b32_e64 v67, 0x7fff, v67, s2
	v_cmp_o_f32_e64 s2, v252, v252
	v_perm_b32 v67, v66, v67, 0x5040100
	s_delay_alu instid0(VALU_DEP_1) | instskip(NEXT) | instid1(VALU_DEP_1)
	v_permlanex16_b32 v68, v67, vcc_hi, 0xfedcba98 op_sel:[1,0]
	v_perm_b32 v66, v68, v67, v120
	v_perm_b32 v67, v68, v67, v121
	v_lshrrev_b32_e32 v68, 16, v124
	s_delay_alu instid0(VALU_DEP_1) | instskip(NEXT) | instid1(VALU_DEP_1)
	v_and_b32_e32 v68, 1, v68
	v_add3_u32 v68, v124, v68, 0x7fff
	v_mov_b32_e32 v124, v222
	s_delay_alu instid0(VALU_DEP_2) | instskip(NEXT) | instid1(VALU_DEP_1)
	v_lshrrev_b32_e32 v68, 16, v68
	v_cndmask_b32_e32 v68, 0x7fff, v68, vcc_lo
	v_cmp_o_f32_e32 vcc_lo, v125, v125
	v_and_b32_e32 v69, 1, v69
	s_delay_alu instid0(VALU_DEP_1) | instskip(NEXT) | instid1(VALU_DEP_1)
	v_add3_u32 v69, v252, v69, 0x7fff
	v_lshrrev_b32_e32 v69, 16, v69
	s_delay_alu instid0(VALU_DEP_1) | instskip(SKIP_1) | instid1(VALU_DEP_2)
	v_cndmask_b32_e64 v69, 0x7fff, v69, s2
	v_cmp_o_f32_e64 s2, v254, v254
	v_perm_b32 v69, v68, v69, 0x5040100
	s_delay_alu instid0(VALU_DEP_2) | instskip(SKIP_1) | instid1(VALU_DEP_3)
	v_cndmask_b32_e64 v71, 0x7fff, v71, s2
	v_cmp_o_f32_e64 s2, v227, v227
	v_permlanex16_b32 v70, v69, vcc_hi, 0xfedcba98 op_sel:[1,0]
	s_delay_alu instid0(VALU_DEP_1) | instskip(SKIP_2) | instid1(VALU_DEP_1)
	v_perm_b32 v68, v70, v69, v120
	v_perm_b32 v69, v70, v69, v121
	v_lshrrev_b32_e32 v70, 16, v125
	v_and_b32_e32 v70, 1, v70
	s_delay_alu instid0(VALU_DEP_1) | instskip(SKIP_1) | instid1(VALU_DEP_2)
	v_add3_u32 v70, v125, v70, 0x7fff
	v_mov_b32_e32 v125, v225
	v_lshrrev_b32_e32 v70, 16, v70
	s_delay_alu instid0(VALU_DEP_1) | instskip(SKIP_1) | instid1(VALU_DEP_2)
	v_cndmask_b32_e32 v70, 0x7fff, v70, vcc_lo
	v_cmp_o_f32_e32 vcc_lo, v231, v231
	v_perm_b32 v71, v70, v71, 0x5040100
	s_delay_alu instid0(VALU_DEP_1) | instskip(NEXT) | instid1(VALU_DEP_1)
	v_permlanex16_b32 v73, v71, vcc_hi, 0xfedcba98 op_sel:[1,0]
	v_perm_b32 v70, v73, v71, v120
	v_perm_b32 v71, v73, v71, v121
	.loc	1 45 20 is_stmt 1               ; attention_fwd.py:45:20
	ds_load_u16 v74, v115 offset:4608
	ds_load_u16 v82, v115 offset:4672
	;; [unrolled: 1-line block ×12, first 2 shown]
	ds_load_u16_d16_hi v72, v115 offset:4224
	ds_load_u16_d16_hi v81, v115 offset:4544
	s_waitcnt lgkmcnt(13)
	ds_load_u16_d16_hi v74, v115 offset:4736
	s_waitcnt lgkmcnt(13)
	;; [unrolled: 2-line block ×8, first 2 shown]
	ds_load_u16_d16_hi v85, v115 offset:5568
	ds_load_u16 v87, v115 offset:5952
	s_waitcnt lgkmcnt(14)
	ds_load_u16_d16_hi v78, v115 offset:5760
	s_waitcnt lgkmcnt(14)
	ds_load_u16_d16_hi v86, v115 offset:5824
	;; [unrolled: 2-line block ×4, first 2 shown]
	ds_load_u16 v152, v115 offset:4448
	ds_load_u16 v153, v115 offset:4704
	;; [unrolled: 1-line block ×6, first 2 shown]
	s_waitcnt lgkmcnt(10)
	ds_load_u16_d16_hi v87, v115 offset:6080
	ds_load_u16 v159, v115 offset:6144
	ds_load_u16 v167, v115 offset:6208
	;; [unrolled: 1-line block ×16, first 2 shown]
	s_waitcnt lgkmcnt(15)
	ds_load_u16_d16_hi v159, v115 offset:6272
	.loc	1 46 37                         ; attention_fwd.py:46:37
	v_wmma_f32_16x16x16_bf16 v[0:7], v[72:79], v[64:71], v[0:7]
	.loc	1 45 20                         ; attention_fwd.py:45:20
	ds_load_u16_d16_hi v89, v115 offset:4512
	ds_load_u16_d16_hi v152, v115 offset:4576
	;; [unrolled: 1-line block ×13, first 2 shown]
	s_waitcnt lgkmcnt(27)
	ds_load_u16_d16_hi v158, v115 offset:6112
	ds_load_u16 v168, v115 offset:6464
	ds_load_u16_d16_hi v167, v115 offset:6336
	ds_load_u16 v72, v115 offset:6176
	ds_load_u16 v175, v115 offset:6240
	.loc	1 46 37                         ; attention_fwd.py:46:37
	v_wmma_f32_16x16x16_bf16 v[16:23], v[80:87], v[64:71], v[16:23]
	v_dual_mov_b32 v83, v220 :: v_dual_mov_b32 v82, v215
	v_mov_b32_e32 v80, v216
	.loc	1 45 20                         ; attention_fwd.py:45:20
	s_waitcnt lgkmcnt(31)
	ds_load_u16_d16_hi v160, v115 offset:6528
	s_waitcnt lgkmcnt(4)
	ds_load_u16_d16_hi v168, v115 offset:6592
	ds_load_u16_d16_hi v161, v115 offset:6784
	;; [unrolled: 1-line block ×13, first 2 shown]
	ds_load_u16 v176, v115 offset:6496
	ds_load_u16 v177, v115 offset:6752
	ds_load_u16 v178, v115 offset:7008
	ds_load_u16 v179, v115 offset:7264
	ds_load_u16 v180, v115 offset:7520
	ds_load_u16 v181, v115 offset:7776
	ds_load_u16 v182, v115 offset:8032
	.loc	1 46 37                         ; attention_fwd.py:46:37
	v_wmma_f32_16x16x16_bf16 v[8:15], v[88:95], v[64:71], v[8:15]
	v_wmma_f32_16x16x16_bf16 v[24:31], v[151:158], v[64:71], v[24:31]
	.loc	1 46 27 is_stmt 0               ; attention_fwd.py:46:27
	v_lshrrev_b32_e32 v64, 16, v231
	v_lshrrev_b32_e32 v65, 16, v227
	;; [unrolled: 1-line block ×5, first 2 shown]
	v_and_b32_e32 v64, 1, v64
	v_and_b32_e32 v65, 1, v65
	;; [unrolled: 1-line block ×5, first 2 shown]
	v_add3_u32 v64, v231, v64, 0x7fff
	v_add3_u32 v65, v227, v65, 0x7fff
	;; [unrolled: 1-line block ×5, first 2 shown]
	v_lshrrev_b32_e32 v64, 16, v64
	v_lshrrev_b32_e32 v65, 16, v65
	;; [unrolled: 1-line block ×5, first 2 shown]
	v_cndmask_b32_e32 v64, 0x7fff, v64, vcc_lo
	v_cndmask_b32_e64 v65, 0x7fff, v65, s2
	v_cmp_o_f32_e32 vcc_lo, v233, v233
	v_cmp_o_f32_e64 s2, v230, v230
.Ltmp1:
	.file	2 "/root/.local/lib/python3.13/site-packages/triton/language" "standard.py"
	.loc	2 263 15 is_stmt 1              ; standard.py:263:15 @[ standard.py:293:36 @[ attention_fwd.py:42:38 ] ]
	v_dual_add_f32 v227, v228, v229 :: v_dual_mov_b32 v88, v223
	s_delay_alu instid0(VALU_DEP_4) | instskip(SKIP_1) | instid1(VALU_DEP_4)
.Ltmp2:
	.loc	1 46 27                         ; attention_fwd.py:46:27
	v_perm_b32 v65, v64, v65, 0x5040100
	v_mov_b32_e32 v86, v224
	v_cndmask_b32_e64 v67, 0x7fff, v67, s2
	v_cmp_o_f32_e64 s2, v235, v235
	.loc	1 42 28                         ; attention_fwd.py:42:28
	v_fmac_f32_e32 v227, v194, v150
	.loc	1 46 27                         ; attention_fwd.py:46:27
	v_permlanex16_b32 v66, v65, vcc_hi, 0xfedcba98 op_sel:[1,0]
	v_mov_b32_e32 v87, v221
	v_mov_b32_e32 v85, v219
	v_cndmask_b32_e64 v69, 0x7fff, v69, s2
	v_cmp_o_f32_e64 s2, v236, v236
	v_perm_b32 v64, v66, v65, v120
	v_perm_b32 v65, v66, v65, v121
	v_lshrrev_b32_e32 v66, 16, v233
	v_mov_b32_e32 v84, v217
	v_cndmask_b32_e64 v71, 0x7fff, v71, s2
	s_delay_alu instid0(VALU_DEP_3) | instskip(NEXT) | instid1(VALU_DEP_1)
	v_dual_mov_b32 v81, v213 :: v_dual_and_b32 v66, 1, v66
	v_add3_u32 v66, v233, v66, 0x7fff
	s_delay_alu instid0(VALU_DEP_1) | instskip(NEXT) | instid1(VALU_DEP_1)
	v_lshrrev_b32_e32 v66, 16, v66
	v_cndmask_b32_e32 v66, 0x7fff, v66, vcc_lo
	v_cmp_o_f32_e32 vcc_lo, v238, v238
	s_delay_alu instid0(VALU_DEP_2) | instskip(NEXT) | instid1(VALU_DEP_1)
	v_perm_b32 v67, v66, v67, 0x5040100
	v_permlanex16_b32 v68, v67, vcc_hi, 0xfedcba98 op_sel:[1,0]
	s_delay_alu instid0(VALU_DEP_1) | instskip(SKIP_2) | instid1(VALU_DEP_1)
	v_perm_b32 v66, v68, v67, v120
	v_perm_b32 v67, v68, v67, v121
	v_lshrrev_b32_e32 v68, 16, v238
	v_and_b32_e32 v68, 1, v68
	s_delay_alu instid0(VALU_DEP_1) | instskip(NEXT) | instid1(VALU_DEP_1)
	v_add3_u32 v68, v238, v68, 0x7fff
	v_lshrrev_b32_e32 v68, 16, v68
	s_delay_alu instid0(VALU_DEP_1) | instskip(SKIP_1) | instid1(VALU_DEP_2)
	v_cndmask_b32_e32 v68, 0x7fff, v68, vcc_lo
	v_cmp_o_f32_e32 vcc_lo, v237, v237
	v_perm_b32 v69, v68, v69, 0x5040100
	s_delay_alu instid0(VALU_DEP_1) | instskip(NEXT) | instid1(VALU_DEP_1)
	v_permlanex16_b32 v70, v69, vcc_hi, 0xfedcba98 op_sel:[1,0]
	v_perm_b32 v68, v70, v69, v120
	v_perm_b32 v69, v70, v69, v121
	v_lshrrev_b32_e32 v70, 16, v237
	s_delay_alu instid0(VALU_DEP_1) | instskip(NEXT) | instid1(VALU_DEP_1)
	v_and_b32_e32 v70, 1, v70
	v_add3_u32 v70, v237, v70, 0x7fff
	s_delay_alu instid0(VALU_DEP_1) | instskip(NEXT) | instid1(VALU_DEP_1)
	v_lshrrev_b32_e32 v70, 16, v70
	v_cndmask_b32_e32 v70, 0x7fff, v70, vcc_lo
	s_delay_alu instid0(VALU_DEP_1) | instskip(NEXT) | instid1(VALU_DEP_1)
	v_perm_b32 v71, v70, v71, 0x5040100
	v_permlanex16_b32 v73, v71, vcc_hi, 0xfedcba98 op_sel:[1,0]
	s_delay_alu instid0(VALU_DEP_1)
	v_perm_b32 v70, v73, v71, v120
	v_perm_b32 v71, v73, v71, v121
	.loc	1 45 20                         ; attention_fwd.py:45:20
	ds_load_u16 v73, v115 offset:6432
	ds_load_u16 v74, v115 offset:6688
	;; [unrolled: 1-line block ×7, first 2 shown]
	s_waitcnt lgkmcnt(29)
	ds_load_u16_d16_hi v72, v115 offset:6304
	s_waitcnt lgkmcnt(29)
	ds_load_u16_d16_hi v175, v115 offset:6368
	;; [unrolled: 2-line block ×3, first 2 shown]
	ds_load_u16_d16_hi v176, v115 offset:6624
	s_waitcnt lgkmcnt(9)
	ds_load_u16_d16_hi v74, v115 offset:6816
	ds_load_u16_d16_hi v177, v115 offset:6880
	s_waitcnt lgkmcnt(10)
	ds_load_u16_d16_hi v75, v115 offset:7072
	ds_load_u16_d16_hi v178, v115 offset:7136
	s_waitcnt lgkmcnt(11)
	ds_load_u16_d16_hi v76, v115 offset:7328
	ds_load_u16_d16_hi v179, v115 offset:7392
	s_waitcnt lgkmcnt(12)
	ds_load_u16_d16_hi v77, v115 offset:7584
	ds_load_u16_d16_hi v180, v115 offset:7648
	s_waitcnt lgkmcnt(13)
	ds_load_u16_d16_hi v78, v115 offset:7840
	ds_load_u16_d16_hi v181, v115 offset:7904
	s_waitcnt lgkmcnt(14)
	ds_load_u16_d16_hi v79, v115 offset:8096
	ds_load_u16_d16_hi v182, v115 offset:8160
	.loc	1 46 37                         ; attention_fwd.py:46:37
	v_wmma_f32_16x16x16_bf16 v[0:7], v[159:166], v[64:71], v[0:7]
	v_wmma_f32_16x16x16_bf16 v[16:23], v[167:174], v[64:71], v[16:23]
	s_waitcnt lgkmcnt(1)
	v_wmma_f32_16x16x16_bf16 v[8:15], v[72:79], v[64:71], v[8:15]
	s_waitcnt lgkmcnt(0)
	v_wmma_f32_16x16x16_bf16 v[24:31], v[175:182], v[64:71], v[24:31]
	v_dual_mov_b32 v79, v211 :: v_dual_mov_b32 v74, v208
	v_dual_mov_b32 v77, v212 :: v_dual_mov_b32 v76, v207
	v_mov_b32_e32 v78, v209
	v_mov_b32_e32 v75, v205
	v_dual_mov_b32 v73, v203 :: v_dual_mov_b32 v70, v204
	v_mov_b32_e32 v71, v201
	v_dual_mov_b32 v69, v199 :: v_dual_mov_b32 v64, v196
	v_dual_mov_b32 v67, v200 :: v_dual_mov_b32 v66, v195
	v_mov_b32_e32 v68, v197
	v_dual_mov_b32 v65, v193 :: v_dual_mov_b32 v194, v227
	v_mov_b32_e32 v72, v109
	.loc	1 45 20                         ; attention_fwd.py:45:20
	s_waitcnt vmcnt(0)
	s_barrier
	buffer_gl0_inv
	ds_store_b16 v106, v226
	ds_store_b16 v106, v234 offset:256
	ds_store_b16 v106, v232 offset:512
	;; [unrolled: 1-line block ×26, first 2 shown]
	ds_store_b16 v107, v248
	ds_store_b16 v108, v133
	;; [unrolled: 1-line block ×3, first 2 shown]
	ds_store_b16 v106, v147 offset:7680
	ds_store_b16 v111, v149
	.loc	1 31 32                         ; attention_fwd.py:31:32
	s_cbranch_scc0 .LBB0_323
.LBB0_195:                              ; =>This Inner Loop Header: Depth=1
	.loc	1 32 27                         ; attention_fwd.py:32:27
	v_add_nc_u32_e32 v89, s103, v99
	s_delay_alu instid0(VALU_DEP_1) | instskip(NEXT) | instid1(VALU_DEP_1)
	v_dual_mov_b32 v193, 0 :: v_dual_add_nc_u32 v90, 64, v89
	.loc	1 34 51                         ; attention_fwd.py:34:51
	v_cmp_gt_i32_e32 vcc_lo, s100, v90
	.loc	1 34 20 is_stmt 0               ; attention_fwd.py:34:20
	s_and_saveexec_b32 s1, vcc_lo
	s_cbranch_execz .LBB0_197
; %bb.196:                              ;   in Loop: Header=BB0_195 Depth=1
	.loc	1 0 20                          ; attention_fwd.py:0:20
	v_add_nc_u32_e32 v90, s98, v185
	s_delay_alu instid0(VALU_DEP_1) | instskip(NEXT) | instid1(VALU_DEP_1)
	v_ashrrev_i32_e32 v91, 31, v90
	v_lshlrev_b64 v[90:91], 1, v[90:91]
	s_delay_alu instid0(VALU_DEP_1) | instskip(NEXT) | instid1(VALU_DEP_1)
	v_add_co_u32 v90, s2, v116, v90
	v_add_co_ci_u32_e64 v91, null, v117, v91, s2
	.loc	1 34 20                         ; attention_fwd.py:34:20
	global_load_u16 v193, v[90:91], off
.LBB0_197:                              ;   in Loop: Header=BB0_195 Depth=1
	.loc	1 0 20                          ; attention_fwd.py:0:20
	s_or_b32 exec_lo, exec_lo, s1
	v_dual_mov_b32 v195, 0 :: v_dual_add_nc_u32 v90, 0x42, v89
	v_mov_b32_e32 v196, 0
	s_delay_alu instid0(VALU_DEP_2)
	.loc	1 34 51                         ; attention_fwd.py:34:51
	v_cmp_gt_i32_e64 s2, s100, v90
	.loc	1 34 20                         ; attention_fwd.py:34:20
	s_and_saveexec_b32 s1, s2
	s_cbranch_execz .LBB0_199
; %bb.198:                              ;   in Loop: Header=BB0_195 Depth=1
	.loc	1 33 39 is_stmt 1               ; attention_fwd.py:33:39
	v_add_nc_u32_e32 v90, s98, v183
	s_delay_alu instid0(VALU_DEP_1) | instskip(NEXT) | instid1(VALU_DEP_1)
	.loc	1 33 21 is_stmt 0               ; attention_fwd.py:33:21
	v_ashrrev_i32_e32 v91, 31, v90
	.loc	1 33 51                         ; attention_fwd.py:33:51
	v_lshlrev_b64 v[90:91], 1, v[90:91]
	s_delay_alu instid0(VALU_DEP_1) | instskip(NEXT) | instid1(VALU_DEP_1)
	v_add_co_u32 v90, s3, v116, v90
	v_add_co_ci_u32_e64 v91, null, v117, v91, s3
	.loc	1 34 20 is_stmt 1               ; attention_fwd.py:34:20
	global_load_u16 v196, v[90:91], off
.LBB0_199:                              ;   in Loop: Header=BB0_195 Depth=1
	.loc	1 0 20 is_stmt 0                ; attention_fwd.py:0:20
	s_or_b32 exec_lo, exec_lo, s1
	.loc	1 32 27 is_stmt 1               ; attention_fwd.py:32:27
	v_add_nc_u32_e32 v90, 0x44, v89
	s_delay_alu instid0(VALU_DEP_1) | instskip(NEXT) | instid1(VALU_DEP_1)
	.loc	1 34 51                         ; attention_fwd.py:34:51
	v_cmp_gt_i32_e64 s0, s100, v90
	v_writelane_b32 v255, s0, 5
	.loc	1 34 20 is_stmt 0               ; attention_fwd.py:34:20
	s_and_saveexec_b32 s1, s0
	s_cbranch_execz .LBB0_201
; %bb.200:                              ;   in Loop: Header=BB0_195 Depth=1
	.loc	1 33 39 is_stmt 1               ; attention_fwd.py:33:39
	scratch_load_b32 v90, off, off offset:236 ; 4-byte Folded Reload
	s_waitcnt vmcnt(0)
	v_add_nc_u32_e32 v90, s98, v90
	s_delay_alu instid0(VALU_DEP_1) | instskip(NEXT) | instid1(VALU_DEP_1)
	.loc	1 33 21 is_stmt 0               ; attention_fwd.py:33:21
	v_ashrrev_i32_e32 v91, 31, v90
	.loc	1 33 51                         ; attention_fwd.py:33:51
	v_lshlrev_b64 v[90:91], 1, v[90:91]
	s_delay_alu instid0(VALU_DEP_1) | instskip(NEXT) | instid1(VALU_DEP_1)
	v_add_co_u32 v90, s4, v116, v90
	v_add_co_ci_u32_e64 v91, null, v117, v91, s4
	.loc	1 34 20 is_stmt 1               ; attention_fwd.py:34:20
	global_load_u16 v195, v[90:91], off
.LBB0_201:                              ;   in Loop: Header=BB0_195 Depth=1
	.loc	1 0 20 is_stmt 0                ; attention_fwd.py:0:20
	s_or_b32 exec_lo, exec_lo, s1
	v_dual_mov_b32 v197, 0 :: v_dual_add_nc_u32 v90, 0x46, v89
	v_mov_b32_e32 v198, 0
	s_delay_alu instid0(VALU_DEP_2)
	.loc	1 34 51                         ; attention_fwd.py:34:51
	v_cmp_gt_i32_e64 s0, s100, v90
	.loc	1 34 20                         ; attention_fwd.py:34:20
	s_and_saveexec_b32 s1, s0
	s_cbranch_execz .LBB0_203
; %bb.202:                              ;   in Loop: Header=BB0_195 Depth=1
	.loc	1 33 39 is_stmt 1               ; attention_fwd.py:33:39
	scratch_load_b32 v90, off, off offset:228 ; 4-byte Folded Reload
	s_waitcnt vmcnt(0)
	v_add_nc_u32_e32 v90, s98, v90
	s_delay_alu instid0(VALU_DEP_1) | instskip(NEXT) | instid1(VALU_DEP_1)
	.loc	1 33 21 is_stmt 0               ; attention_fwd.py:33:21
	v_ashrrev_i32_e32 v91, 31, v90
	.loc	1 33 51                         ; attention_fwd.py:33:51
	v_lshlrev_b64 v[90:91], 1, v[90:91]
	s_delay_alu instid0(VALU_DEP_1) | instskip(NEXT) | instid1(VALU_DEP_1)
	v_add_co_u32 v90, s5, v116, v90
	v_add_co_ci_u32_e64 v91, null, v117, v91, s5
	.loc	1 34 20 is_stmt 1               ; attention_fwd.py:34:20
	global_load_u16 v198, v[90:91], off
.LBB0_203:                              ;   in Loop: Header=BB0_195 Depth=1
	.loc	1 0 20 is_stmt 0                ; attention_fwd.py:0:20
	s_or_b32 exec_lo, exec_lo, s1
	.loc	1 32 27 is_stmt 1               ; attention_fwd.py:32:27
	v_add_nc_u32_e32 v90, 0x48, v89
	s_delay_alu instid0(VALU_DEP_1)
	.loc	1 34 51                         ; attention_fwd.py:34:51
	v_cmp_gt_i32_e64 s104, s100, v90
	.loc	1 34 20 is_stmt 0               ; attention_fwd.py:34:20
	s_and_saveexec_b32 s1, s104
	s_cbranch_execz .LBB0_205
; %bb.204:                              ;   in Loop: Header=BB0_195 Depth=1
	.loc	1 33 39 is_stmt 1               ; attention_fwd.py:33:39
	scratch_load_b32 v90, off, off offset:220 ; 4-byte Folded Reload
	s_waitcnt vmcnt(0)
	v_add_nc_u32_e32 v90, s98, v90
	s_delay_alu instid0(VALU_DEP_1) | instskip(NEXT) | instid1(VALU_DEP_1)
	.loc	1 33 21 is_stmt 0               ; attention_fwd.py:33:21
	v_ashrrev_i32_e32 v91, 31, v90
	.loc	1 33 51                         ; attention_fwd.py:33:51
	v_lshlrev_b64 v[90:91], 1, v[90:91]
	s_delay_alu instid0(VALU_DEP_1) | instskip(NEXT) | instid1(VALU_DEP_1)
	v_add_co_u32 v90, s6, v116, v90
	v_add_co_ci_u32_e64 v91, null, v117, v91, s6
	.loc	1 34 20 is_stmt 1               ; attention_fwd.py:34:20
	global_load_u16 v197, v[90:91], off
.LBB0_205:                              ;   in Loop: Header=BB0_195 Depth=1
	.loc	1 0 20 is_stmt 0                ; attention_fwd.py:0:20
	s_or_b32 exec_lo, exec_lo, s1
	v_dual_mov_b32 v199, 0 :: v_dual_add_nc_u32 v90, 0x4a, v89
	v_mov_b32_e32 v200, 0
	s_delay_alu instid0(VALU_DEP_2)
	.loc	1 34 51                         ; attention_fwd.py:34:51
	v_cmp_gt_i32_e64 s101, s100, v90
	.loc	1 34 20                         ; attention_fwd.py:34:20
	s_and_saveexec_b32 s1, s101
	s_cbranch_execz .LBB0_207
; %bb.206:                              ;   in Loop: Header=BB0_195 Depth=1
	.loc	1 33 39 is_stmt 1               ; attention_fwd.py:33:39
	scratch_load_b32 v90, off, off offset:212 ; 4-byte Folded Reload
	s_waitcnt vmcnt(0)
	v_add_nc_u32_e32 v90, s98, v90
	s_delay_alu instid0(VALU_DEP_1) | instskip(NEXT) | instid1(VALU_DEP_1)
	.loc	1 33 21 is_stmt 0               ; attention_fwd.py:33:21
	v_ashrrev_i32_e32 v91, 31, v90
	.loc	1 33 51                         ; attention_fwd.py:33:51
	v_lshlrev_b64 v[90:91], 1, v[90:91]
	s_delay_alu instid0(VALU_DEP_1) | instskip(NEXT) | instid1(VALU_DEP_1)
	v_add_co_u32 v90, s7, v116, v90
	v_add_co_ci_u32_e64 v91, null, v117, v91, s7
	.loc	1 34 20 is_stmt 1               ; attention_fwd.py:34:20
	global_load_u16 v200, v[90:91], off
.LBB0_207:                              ;   in Loop: Header=BB0_195 Depth=1
	.loc	1 0 20 is_stmt 0                ; attention_fwd.py:0:20
	s_or_b32 exec_lo, exec_lo, s1
	.loc	1 32 27 is_stmt 1               ; attention_fwd.py:32:27
	v_add_nc_u32_e32 v90, 0x4c, v89
	s_delay_alu instid0(VALU_DEP_1)
	.loc	1 34 51                         ; attention_fwd.py:34:51
	v_cmp_gt_i32_e64 s3, s100, v90
	.loc	1 34 20 is_stmt 0               ; attention_fwd.py:34:20
	s_and_saveexec_b32 s1, s3
	s_cbranch_execz .LBB0_209
; %bb.208:                              ;   in Loop: Header=BB0_195 Depth=1
	.loc	1 33 39 is_stmt 1               ; attention_fwd.py:33:39
	scratch_load_b32 v90, off, off offset:204 ; 4-byte Folded Reload
	s_waitcnt vmcnt(0)
	v_add_nc_u32_e32 v90, s98, v90
	s_delay_alu instid0(VALU_DEP_1) | instskip(NEXT) | instid1(VALU_DEP_1)
	.loc	1 33 21 is_stmt 0               ; attention_fwd.py:33:21
	v_ashrrev_i32_e32 v91, 31, v90
	.loc	1 33 51                         ; attention_fwd.py:33:51
	v_lshlrev_b64 v[90:91], 1, v[90:91]
	s_delay_alu instid0(VALU_DEP_1) | instskip(NEXT) | instid1(VALU_DEP_1)
	v_add_co_u32 v90, s8, v116, v90
	v_add_co_ci_u32_e64 v91, null, v117, v91, s8
	.loc	1 34 20 is_stmt 1               ; attention_fwd.py:34:20
	global_load_u16 v199, v[90:91], off
.LBB0_209:                              ;   in Loop: Header=BB0_195 Depth=1
	.loc	1 0 20 is_stmt 0                ; attention_fwd.py:0:20
	s_or_b32 exec_lo, exec_lo, s1
	v_dual_mov_b32 v201, 0 :: v_dual_add_nc_u32 v90, 0x4e, v89
	v_mov_b32_e32 v202, 0
	s_delay_alu instid0(VALU_DEP_2) | instskip(NEXT) | instid1(VALU_DEP_1)
	.loc	1 34 51                         ; attention_fwd.py:34:51
	v_cmp_gt_i32_e64 s4, s100, v90
	v_writelane_b32 v255, s4, 6
	.loc	1 34 20                         ; attention_fwd.py:34:20
	s_and_saveexec_b32 s1, s4
	s_cbranch_execz .LBB0_211
; %bb.210:                              ;   in Loop: Header=BB0_195 Depth=1
	.loc	1 33 39 is_stmt 1               ; attention_fwd.py:33:39
	scratch_load_b32 v90, off, off offset:196 ; 4-byte Folded Reload
	s_waitcnt vmcnt(0)
	v_add_nc_u32_e32 v90, s98, v90
	s_delay_alu instid0(VALU_DEP_1) | instskip(NEXT) | instid1(VALU_DEP_1)
	.loc	1 33 21 is_stmt 0               ; attention_fwd.py:33:21
	v_ashrrev_i32_e32 v91, 31, v90
	.loc	1 33 51                         ; attention_fwd.py:33:51
	v_lshlrev_b64 v[90:91], 1, v[90:91]
	s_delay_alu instid0(VALU_DEP_1) | instskip(NEXT) | instid1(VALU_DEP_1)
	v_add_co_u32 v90, s9, v116, v90
	v_add_co_ci_u32_e64 v91, null, v117, v91, s9
	.loc	1 34 20 is_stmt 1               ; attention_fwd.py:34:20
	global_load_u16 v202, v[90:91], off
.LBB0_211:                              ;   in Loop: Header=BB0_195 Depth=1
	.loc	1 0 20 is_stmt 0                ; attention_fwd.py:0:20
	s_or_b32 exec_lo, exec_lo, s1
	.loc	1 32 27 is_stmt 1               ; attention_fwd.py:32:27
	v_add_nc_u32_e32 v90, 0x50, v89
	s_delay_alu instid0(VALU_DEP_1) | instskip(NEXT) | instid1(VALU_DEP_1)
	.loc	1 34 51                         ; attention_fwd.py:34:51
	v_cmp_gt_i32_e64 s4, s100, v90
	v_writelane_b32 v255, s4, 7
	.loc	1 34 20 is_stmt 0               ; attention_fwd.py:34:20
	s_and_saveexec_b32 s1, s4
	s_cbranch_execz .LBB0_213
; %bb.212:                              ;   in Loop: Header=BB0_195 Depth=1
	.loc	1 33 39 is_stmt 1               ; attention_fwd.py:33:39
	scratch_load_b32 v90, off, off offset:188 ; 4-byte Folded Reload
	s_waitcnt vmcnt(0)
	v_add_nc_u32_e32 v90, s98, v90
	s_delay_alu instid0(VALU_DEP_1) | instskip(NEXT) | instid1(VALU_DEP_1)
	.loc	1 33 21 is_stmt 0               ; attention_fwd.py:33:21
	v_ashrrev_i32_e32 v91, 31, v90
	.loc	1 33 51                         ; attention_fwd.py:33:51
	v_lshlrev_b64 v[90:91], 1, v[90:91]
	s_delay_alu instid0(VALU_DEP_1) | instskip(NEXT) | instid1(VALU_DEP_1)
	v_add_co_u32 v90, s10, v116, v90
	v_add_co_ci_u32_e64 v91, null, v117, v91, s10
	.loc	1 34 20 is_stmt 1               ; attention_fwd.py:34:20
	global_load_u16 v201, v[90:91], off
.LBB0_213:                              ;   in Loop: Header=BB0_195 Depth=1
	.loc	1 0 20 is_stmt 0                ; attention_fwd.py:0:20
	s_or_b32 exec_lo, exec_lo, s1
	v_dual_mov_b32 v203, 0 :: v_dual_add_nc_u32 v90, 0x52, v89
	v_mov_b32_e32 v204, 0
	s_delay_alu instid0(VALU_DEP_2) | instskip(NEXT) | instid1(VALU_DEP_1)
	.loc	1 34 51                         ; attention_fwd.py:34:51
	v_cmp_gt_i32_e64 s4, s100, v90
	v_writelane_b32 v255, s4, 8
	.loc	1 34 20                         ; attention_fwd.py:34:20
	s_and_saveexec_b32 s1, s4
	s_cbranch_execz .LBB0_215
; %bb.214:                              ;   in Loop: Header=BB0_195 Depth=1
	.loc	1 33 39 is_stmt 1               ; attention_fwd.py:33:39
	scratch_load_b32 v90, off, off offset:180 ; 4-byte Folded Reload
	s_waitcnt vmcnt(0)
	v_add_nc_u32_e32 v90, s98, v90
	s_delay_alu instid0(VALU_DEP_1) | instskip(NEXT) | instid1(VALU_DEP_1)
	.loc	1 33 21 is_stmt 0               ; attention_fwd.py:33:21
	v_ashrrev_i32_e32 v91, 31, v90
	.loc	1 33 51                         ; attention_fwd.py:33:51
	v_lshlrev_b64 v[90:91], 1, v[90:91]
	s_delay_alu instid0(VALU_DEP_1) | instskip(NEXT) | instid1(VALU_DEP_1)
	v_add_co_u32 v90, s11, v116, v90
	v_add_co_ci_u32_e64 v91, null, v117, v91, s11
	.loc	1 34 20 is_stmt 1               ; attention_fwd.py:34:20
	global_load_u16 v204, v[90:91], off
.LBB0_215:                              ;   in Loop: Header=BB0_195 Depth=1
	.loc	1 0 20 is_stmt 0                ; attention_fwd.py:0:20
	s_or_b32 exec_lo, exec_lo, s1
	.loc	1 32 27 is_stmt 1               ; attention_fwd.py:32:27
	v_add_nc_u32_e32 v90, 0x54, v89
	s_delay_alu instid0(VALU_DEP_1) | instskip(NEXT) | instid1(VALU_DEP_1)
	.loc	1 34 51                         ; attention_fwd.py:34:51
	v_cmp_gt_i32_e64 s4, s100, v90
	v_writelane_b32 v255, s4, 9
	.loc	1 34 20 is_stmt 0               ; attention_fwd.py:34:20
	s_and_saveexec_b32 s1, s4
	s_cbranch_execz .LBB0_217
; %bb.216:                              ;   in Loop: Header=BB0_195 Depth=1
	.loc	1 33 39 is_stmt 1               ; attention_fwd.py:33:39
	scratch_load_b32 v90, off, off offset:172 ; 4-byte Folded Reload
	s_waitcnt vmcnt(0)
	v_add_nc_u32_e32 v90, s98, v90
	s_delay_alu instid0(VALU_DEP_1) | instskip(NEXT) | instid1(VALU_DEP_1)
	.loc	1 33 21 is_stmt 0               ; attention_fwd.py:33:21
	v_ashrrev_i32_e32 v91, 31, v90
	.loc	1 33 51                         ; attention_fwd.py:33:51
	v_lshlrev_b64 v[90:91], 1, v[90:91]
	s_delay_alu instid0(VALU_DEP_1) | instskip(NEXT) | instid1(VALU_DEP_1)
	v_add_co_u32 v90, s12, v116, v90
	v_add_co_ci_u32_e64 v91, null, v117, v91, s12
	.loc	1 34 20 is_stmt 1               ; attention_fwd.py:34:20
	global_load_u16 v203, v[90:91], off
.LBB0_217:                              ;   in Loop: Header=BB0_195 Depth=1
	.loc	1 0 20 is_stmt 0                ; attention_fwd.py:0:20
	s_or_b32 exec_lo, exec_lo, s1
	v_dual_mov_b32 v205, 0 :: v_dual_add_nc_u32 v90, 0x56, v89
	v_mov_b32_e32 v206, 0
	s_delay_alu instid0(VALU_DEP_2)
	.loc	1 34 51                         ; attention_fwd.py:34:51
	v_cmp_gt_i32_e64 s12, s100, v90
	.loc	1 34 20                         ; attention_fwd.py:34:20
	s_and_saveexec_b32 s1, s12
	s_cbranch_execz .LBB0_219
; %bb.218:                              ;   in Loop: Header=BB0_195 Depth=1
	.loc	1 33 39 is_stmt 1               ; attention_fwd.py:33:39
	scratch_load_b32 v90, off, off offset:164 ; 4-byte Folded Reload
	s_waitcnt vmcnt(0)
	v_add_nc_u32_e32 v90, s98, v90
	s_delay_alu instid0(VALU_DEP_1) | instskip(NEXT) | instid1(VALU_DEP_1)
	.loc	1 33 21 is_stmt 0               ; attention_fwd.py:33:21
	v_ashrrev_i32_e32 v91, 31, v90
	.loc	1 33 51                         ; attention_fwd.py:33:51
	v_lshlrev_b64 v[90:91], 1, v[90:91]
	s_delay_alu instid0(VALU_DEP_1) | instskip(NEXT) | instid1(VALU_DEP_1)
	v_add_co_u32 v90, s13, v116, v90
	v_add_co_ci_u32_e64 v91, null, v117, v91, s13
	.loc	1 34 20 is_stmt 1               ; attention_fwd.py:34:20
	global_load_u16 v206, v[90:91], off
.LBB0_219:                              ;   in Loop: Header=BB0_195 Depth=1
	.loc	1 0 20 is_stmt 0                ; attention_fwd.py:0:20
	s_or_b32 exec_lo, exec_lo, s1
	.loc	1 32 27 is_stmt 1               ; attention_fwd.py:32:27
	v_add_nc_u32_e32 v90, 0x58, v89
	s_delay_alu instid0(VALU_DEP_1)
	.loc	1 34 51                         ; attention_fwd.py:34:51
	v_cmp_gt_i32_e64 s13, s100, v90
	.loc	1 34 20 is_stmt 0               ; attention_fwd.py:34:20
	s_and_saveexec_b32 s1, s13
	s_cbranch_execz .LBB0_221
; %bb.220:                              ;   in Loop: Header=BB0_195 Depth=1
	.loc	1 33 39 is_stmt 1               ; attention_fwd.py:33:39
	scratch_load_b32 v90, off, off offset:156 ; 4-byte Folded Reload
	s_waitcnt vmcnt(0)
	v_add_nc_u32_e32 v90, s98, v90
	s_delay_alu instid0(VALU_DEP_1) | instskip(NEXT) | instid1(VALU_DEP_1)
	.loc	1 33 21 is_stmt 0               ; attention_fwd.py:33:21
	v_ashrrev_i32_e32 v91, 31, v90
	.loc	1 33 51                         ; attention_fwd.py:33:51
	v_lshlrev_b64 v[90:91], 1, v[90:91]
	s_delay_alu instid0(VALU_DEP_1) | instskip(NEXT) | instid1(VALU_DEP_1)
	v_add_co_u32 v90, s14, v116, v90
	v_add_co_ci_u32_e64 v91, null, v117, v91, s14
	.loc	1 34 20 is_stmt 1               ; attention_fwd.py:34:20
	global_load_u16 v205, v[90:91], off
.LBB0_221:                              ;   in Loop: Header=BB0_195 Depth=1
	.loc	1 0 20 is_stmt 0                ; attention_fwd.py:0:20
	s_or_b32 exec_lo, exec_lo, s1
	v_dual_mov_b32 v207, 0 :: v_dual_add_nc_u32 v90, 0x5a, v89
	v_mov_b32_e32 v208, 0
	s_delay_alu instid0(VALU_DEP_2)
	.loc	1 34 51                         ; attention_fwd.py:34:51
	v_cmp_gt_i32_e64 s14, s100, v90
	.loc	1 34 20                         ; attention_fwd.py:34:20
	s_and_saveexec_b32 s1, s14
	s_cbranch_execz .LBB0_223
; %bb.222:                              ;   in Loop: Header=BB0_195 Depth=1
	.loc	1 33 39 is_stmt 1               ; attention_fwd.py:33:39
	scratch_load_b32 v90, off, off offset:148 ; 4-byte Folded Reload
	s_waitcnt vmcnt(0)
	v_add_nc_u32_e32 v90, s98, v90
	s_delay_alu instid0(VALU_DEP_1) | instskip(NEXT) | instid1(VALU_DEP_1)
	.loc	1 33 21 is_stmt 0               ; attention_fwd.py:33:21
	v_ashrrev_i32_e32 v91, 31, v90
	.loc	1 33 51                         ; attention_fwd.py:33:51
	v_lshlrev_b64 v[90:91], 1, v[90:91]
	s_delay_alu instid0(VALU_DEP_1) | instskip(NEXT) | instid1(VALU_DEP_1)
	v_add_co_u32 v90, s15, v116, v90
	v_add_co_ci_u32_e64 v91, null, v117, v91, s15
	.loc	1 34 20 is_stmt 1               ; attention_fwd.py:34:20
	global_load_u16 v208, v[90:91], off
.LBB0_223:                              ;   in Loop: Header=BB0_195 Depth=1
	.loc	1 0 20 is_stmt 0                ; attention_fwd.py:0:20
	s_or_b32 exec_lo, exec_lo, s1
	.loc	1 32 27 is_stmt 1               ; attention_fwd.py:32:27
	v_add_nc_u32_e32 v90, 0x5c, v89
	s_delay_alu instid0(VALU_DEP_1)
	.loc	1 34 51                         ; attention_fwd.py:34:51
	v_cmp_gt_i32_e64 s15, s100, v90
	;; [unrolled: 52-line block ×10, first 2 shown]
	.loc	1 34 20 is_stmt 0               ; attention_fwd.py:34:20
	s_and_saveexec_b32 s1, s31
	s_cbranch_execz .LBB0_257
; %bb.256:                              ;   in Loop: Header=BB0_195 Depth=1
	.loc	1 33 39 is_stmt 1               ; attention_fwd.py:33:39
	scratch_load_b32 v90, off, off offset:12 ; 4-byte Folded Reload
	s_waitcnt vmcnt(0)
	v_add_nc_u32_e32 v90, s98, v90
	s_delay_alu instid0(VALU_DEP_1) | instskip(NEXT) | instid1(VALU_DEP_1)
	.loc	1 33 21 is_stmt 0               ; attention_fwd.py:33:21
	v_ashrrev_i32_e32 v91, 31, v90
	.loc	1 33 51                         ; attention_fwd.py:33:51
	v_lshlrev_b64 v[90:91], 1, v[90:91]
	s_delay_alu instid0(VALU_DEP_1) | instskip(NEXT) | instid1(VALU_DEP_1)
	v_add_co_u32 v90, s33, v116, v90
	v_add_co_ci_u32_e64 v91, null, v117, v91, s33
	.loc	1 34 20 is_stmt 1               ; attention_fwd.py:34:20
	global_load_u16 v223, v[90:91], off
.LBB0_257:                              ;   in Loop: Header=BB0_195 Depth=1
	.loc	1 0 20 is_stmt 0                ; attention_fwd.py:0:20
	s_or_b32 exec_lo, exec_lo, s1
	v_dual_mov_b32 v226, 0 :: v_dual_add_nc_u32 v89, 0x7e, v89
	v_mov_b32_e32 v225, 0
	s_delay_alu instid0(VALU_DEP_2)
	.loc	1 34 51                         ; attention_fwd.py:34:51
	v_cmp_gt_i32_e64 s33, s100, v89
	.loc	1 34 20                         ; attention_fwd.py:34:20
	s_and_saveexec_b32 s1, s33
	s_cbranch_execz .LBB0_259
; %bb.258:                              ;   in Loop: Header=BB0_195 Depth=1
	.loc	1 33 21 is_stmt 1               ; attention_fwd.py:33:21
	scratch_load_b32 v89, off, off offset:4 ; 4-byte Folded Reload
	s_waitcnt vmcnt(0)
	v_add_nc_u32_e32 v89, s98, v89
	s_delay_alu instid0(VALU_DEP_1) | instskip(NEXT) | instid1(VALU_DEP_1)
	v_ashrrev_i32_e32 v90, 31, v89
	.loc	1 33 51 is_stmt 0               ; attention_fwd.py:33:51
	v_lshlrev_b64 v[89:90], 1, v[89:90]
	s_delay_alu instid0(VALU_DEP_1) | instskip(NEXT) | instid1(VALU_DEP_1)
	v_add_co_u32 v89, s34, v116, v89
	v_add_co_ci_u32_e64 v90, null, v117, v90, s34
	.loc	1 34 20 is_stmt 1               ; attention_fwd.py:34:20
	global_load_u16 v225, v[89:90], off
.LBB0_259:                              ;   in Loop: Header=BB0_195 Depth=1
	.loc	1 0 20 is_stmt 0                ; attention_fwd.py:0:20
	s_or_b32 exec_lo, exec_lo, s1
	.loc	1 35 32 is_stmt 1               ; attention_fwd.py:35:32
	v_add_nc_u32_e32 v89, 0, v105
	ds_store_b16 v101, v65 offset:8192
	ds_store_b16 v101, v68 offset:9216
	;; [unrolled: 1-line block ×32, first 2 shown]
	.loc	1 35 23 is_stmt 0               ; attention_fwd.py:35:23
	v_dual_mov_b32 v129, s43 :: v_dual_mov_b32 v126, s40
	.loc	1 35 32                         ; attention_fwd.py:35:32
	s_waitcnt vmcnt(0) lgkmcnt(0)
	s_waitcnt_vscnt null, 0x0
	s_barrier
	buffer_gl0_inv
	.loc	1 35 23                         ; attention_fwd.py:35:23
	v_mov_b32_e32 v128, s42
	.loc	1 35 32                         ; attention_fwd.py:35:32
	ds_load_b128 v[68:71], v186 offset:8192
	ds_load_b128 v[64:67], v89 offset:8192
	;; [unrolled: 1-line block ×8, first 2 shown]
	.loc	1 35 23                         ; attention_fwd.py:35:23
	v_dual_mov_b32 v127, s41 :: v_dual_mov_b32 v124, s38
	v_dual_mov_b32 v125, s39 :: v_dual_mov_b32 v122, s36
	v_mov_b32_e32 v123, s37
	s_mov_b64 s[4:5], s[36:37]
	s_mov_b64 s[6:7], s[38:39]
	;; [unrolled: 1-line block ×4, first 2 shown]
	s_waitcnt lgkmcnt(6)
	v_wmma_f32_16x16x16_bf16 v[130:137], v[64:71], v[48:55], v[122:129]
	s_waitcnt lgkmcnt(4)
	v_wmma_f32_16x16x16_bf16 v[64:71], v[73:80], v[48:55], v[122:129]
	;; [unrolled: 2-line block ×4, first 2 shown]
	.loc	1 35 32                         ; attention_fwd.py:35:32
	ds_load_b128 v[93:96], v188 offset:8192
	ds_load_b128 v[89:92], v187 offset:8192
	ds_load_b128 v[122:125], v187 offset:10240
	ds_load_b128 v[126:129], v188 offset:10240
	.loc	1 35 23                         ; attention_fwd.py:35:23
	s_waitcnt lgkmcnt(2)
	v_wmma_f32_16x16x16_bf16 v[130:137], v[89:96], v[56:63], v[130:137]
	s_waitcnt lgkmcnt(0)
	v_wmma_f32_16x16x16_bf16 v[64:71], v[122:129], v[56:63], v[64:71]
	.loc	1 35 32                         ; attention_fwd.py:35:32
	ds_load_b128 v[93:96], v188 offset:12288
	ds_load_b128 v[89:92], v187 offset:12288
	ds_load_b128 v[122:125], v187 offset:14336
	ds_load_b128 v[126:129], v188 offset:14336
	.loc	1 35 23                         ; attention_fwd.py:35:23
	s_waitcnt lgkmcnt(2)
	v_wmma_f32_16x16x16_bf16 v[73:80], v[89:96], v[56:63], v[73:80]
	s_waitcnt lgkmcnt(0)
	v_wmma_f32_16x16x16_bf16 v[81:88], v[122:129], v[56:63], v[81:88]
	;; [unrolled: 10-line block ×5, first 2 shown]
	.loc	1 35 32                         ; attention_fwd.py:35:32
	ds_load_b128 v[93:96], v192 offset:12288
	ds_load_b128 v[89:92], v191 offset:12288
	;; [unrolled: 1-line block ×4, first 2 shown]
	.loc	1 35 38                         ; attention_fwd.py:35:38
	v_dual_mul_f32 v64, s102, v64 :: v_dual_mul_f32 v65, s102, v65
	v_dual_mul_f32 v67, s102, v67 :: v_dual_mul_f32 v68, s102, v68
	;; [unrolled: 1-line block ×3, first 2 shown]
	v_mul_f32_e32 v70, s102, v70
	.loc	1 35 23                         ; attention_fwd.py:35:23
	s_waitcnt lgkmcnt(2)
	v_wmma_f32_16x16x16_bf16 v[73:80], v[89:96], v[32:39], v[73:80]
	.loc	1 35 38                         ; attention_fwd.py:35:38
	v_dual_mul_f32 v89, s102, v130 :: v_dual_mul_f32 v92, s102, v133
	.loc	1 35 23                         ; attention_fwd.py:35:23
	s_waitcnt lgkmcnt(0)
	v_wmma_f32_16x16x16_bf16 v[81:88], v[122:129], v[32:39], v[81:88]
	.loc	1 35 38                         ; attention_fwd.py:35:38
	v_mul_f32_e32 v90, s102, v131
	v_mul_f32_e32 v79, s102, v79
	v_dual_mul_f32 v91, s102, v132 :: v_dual_mul_f32 v94, s102, v135
	s_delay_alu instid0(VALU_DEP_4) | instskip(SKIP_3) | instid1(VALU_DEP_3)
	v_dual_mul_f32 v97, s102, v81 :: v_dual_mul_f32 v104, s102, v83
	v_dual_mul_f32 v98, s102, v82 :: v_dual_add_nc_u32 v81, s103, v112
	v_dual_mul_f32 v88, s102, v88 :: v_dual_mul_f32 v93, s102, v134
	v_mul_f32_e32 v96, s102, v137
	.loc	1 36 40 is_stmt 1               ; attention_fwd.py:36:40
	v_cmp_le_i32_e64 s92, s100, v81
	.loc	1 38 45                         ; attention_fwd.py:38:45
	v_cmp_lt_i32_e64 s93, v114, v81
	.loc	1 35 38                         ; attention_fwd.py:35:38
	v_mul_f32_e32 v95, s102, v136
	v_dual_mul_f32 v71, s102, v71 :: v_dual_mul_f32 v74, s102, v74
	v_dual_mul_f32 v73, s102, v73 :: v_dual_mul_f32 v76, s102, v76
	.loc	1 38 66                         ; attention_fwd.py:38:66
	s_or_b32 s1, s93, s92
	.loc	1 35 38                         ; attention_fwd.py:35:38
	v_dual_mul_f32 v75, s102, v75 :: v_dual_mul_f32 v78, s102, v78
	.loc	1 38 66                         ; attention_fwd.py:38:66
	v_cndmask_b32_e64 v89, v89, 0xff800000, s1
	.loc	1 35 38                         ; attention_fwd.py:35:38
	v_dual_mul_f32 v123, s102, v86 :: v_dual_add_nc_u32 v82, 2, v81
	v_dual_mul_f32 v124, s102, v87 :: v_dual_mul_f32 v77, s102, v77
	v_mul_f32_e32 v80, s102, v80
	s_delay_alu instid0(VALU_DEP_3) | instskip(SKIP_4) | instid1(VALU_DEP_2)
	.loc	1 36 40                         ; attention_fwd.py:36:40
	v_cmp_le_i32_e64 s34, s100, v82
	.loc	1 38 45                         ; attention_fwd.py:38:45
	v_cmp_lt_i32_e64 s35, v114, v82
	.loc	1 35 38                         ; attention_fwd.py:35:38
	v_dual_mul_f32 v109, s102, v84 :: v_dual_add_nc_u32 v82, 4, v81
	v_mul_f32_e32 v122, s102, v85
	.loc	1 38 66                         ; attention_fwd.py:38:66
	s_or_b32 s1, s35, s34
	.loc	1 36 40                         ; attention_fwd.py:36:40
	v_cmp_le_i32_e64 s36, s100, v82
	.loc	1 38 45                         ; attention_fwd.py:38:45
	v_cmp_lt_i32_e64 s37, v114, v82
	.loc	1 32 27                         ; attention_fwd.py:32:27
	v_add_nc_u32_e32 v82, 6, v81
	.loc	1 38 66                         ; attention_fwd.py:38:66
	v_cndmask_b32_e64 v90, v90, 0xff800000, s1
	s_or_b32 s1, s37, s36
	s_delay_alu instid0(VALU_DEP_2) | instskip(SKIP_4) | instid1(VALU_DEP_2)
	.loc	1 36 40                         ; attention_fwd.py:36:40
	v_cmp_le_i32_e64 s38, s100, v82
	.loc	1 38 45                         ; attention_fwd.py:38:45
	v_cmp_lt_i32_e64 s39, v114, v82
	.loc	1 32 27                         ; attention_fwd.py:32:27
	v_add_nc_u32_e32 v82, 8, v81
	.loc	1 38 66                         ; attention_fwd.py:38:66
	v_cndmask_b32_e64 v91, v91, 0xff800000, s1
	s_or_b32 s1, s39, s38
	.loc	1 36 40                         ; attention_fwd.py:36:40
	v_cmp_le_i32_e64 s40, s100, v82
	.loc	1 38 45                         ; attention_fwd.py:38:45
	v_cmp_lt_i32_e64 s41, v114, v82
	.loc	1 32 27                         ; attention_fwd.py:32:27
	v_add_nc_u32_e32 v82, 10, v81
	.loc	1 38 66                         ; attention_fwd.py:38:66
	v_cndmask_b32_e64 v92, v92, 0xff800000, s1
	s_or_b32 s1, s41, s40
	s_delay_alu instid0(VALU_DEP_2) | instskip(SKIP_4) | instid1(VALU_DEP_2)
	.loc	1 36 40                         ; attention_fwd.py:36:40
	v_cmp_le_i32_e64 s42, s100, v82
	.loc	1 38 45                         ; attention_fwd.py:38:45
	v_cmp_lt_i32_e64 s43, v114, v82
	.loc	1 32 27                         ; attention_fwd.py:32:27
	v_add_nc_u32_e32 v82, 12, v81
	.loc	1 38 66                         ; attention_fwd.py:38:66
	v_cndmask_b32_e64 v93, v93, 0xff800000, s1
	;; [unrolled: 19-line block ×10, first 2 shown]
	s_or_b32 s1, s75, s74
	.loc	1 36 40                         ; attention_fwd.py:36:40
	v_cmp_le_i32_e64 s76, s100, v82
	.loc	1 38 45                         ; attention_fwd.py:38:45
	v_cmp_lt_i32_e64 s77, v114, v82
	.loc	1 32 27                         ; attention_fwd.py:32:27
	v_add_nc_u32_e32 v82, 46, v81
	.loc	1 38 66                         ; attention_fwd.py:38:66
	v_cndmask_b32_e64 v83, v78, 0xff800000, s1
	s_or_b32 s1, s77, s76
	s_delay_alu instid0(VALU_DEP_2) | instskip(SKIP_2) | instid1(VALU_DEP_1)
	.loc	1 36 40                         ; attention_fwd.py:36:40
	v_cmp_le_i32_e64 s78, s100, v82
	.loc	1 38 45                         ; attention_fwd.py:38:45
	v_cmp_lt_i32_e64 s79, v114, v82
	.loc	1 32 27                         ; attention_fwd.py:32:27
	v_add_nc_u32_e32 v82, 48, v81
	.loc	1 36 40                         ; attention_fwd.py:36:40
	v_cmp_le_i32_e64 s80, s100, v82
	.loc	1 38 45                         ; attention_fwd.py:38:45
	v_cmp_lt_i32_e64 s81, v114, v82
	.loc	1 32 27                         ; attention_fwd.py:32:27
	v_add_nc_u32_e32 v82, 50, v81
	s_delay_alu instid0(VALU_DEP_1) | instskip(SKIP_2) | instid1(VALU_DEP_1)
	.loc	1 36 40                         ; attention_fwd.py:36:40
	v_cmp_le_i32_e64 s82, s100, v82
	.loc	1 38 45                         ; attention_fwd.py:38:45
	v_cmp_lt_i32_e64 s83, v114, v82
	.loc	1 32 27                         ; attention_fwd.py:32:27
	v_add_nc_u32_e32 v82, 52, v81
	.loc	1 36 40                         ; attention_fwd.py:36:40
	v_cmp_le_i32_e64 s84, s100, v82
	.loc	1 38 45                         ; attention_fwd.py:38:45
	v_cmp_lt_i32_e64 s85, v114, v82
	.loc	1 32 27                         ; attention_fwd.py:32:27
	v_add_nc_u32_e32 v82, 54, v81
	s_delay_alu instid0(VALU_DEP_1) | instskip(SKIP_2) | instid1(VALU_DEP_1)
	.loc	1 36 40                         ; attention_fwd.py:36:40
	v_cmp_le_i32_e64 s86, s100, v82
	.loc	1 38 45                         ; attention_fwd.py:38:45
	v_cmp_lt_i32_e64 s87, v114, v82
	.loc	1 32 27                         ; attention_fwd.py:32:27
	v_add_nc_u32_e32 v82, 56, v81
	.loc	1 36 40                         ; attention_fwd.py:36:40
	v_cmp_le_i32_e64 s88, s100, v82
	.loc	1 38 45                         ; attention_fwd.py:38:45
	v_cmp_lt_i32_e64 s89, v114, v82
	.loc	1 32 27                         ; attention_fwd.py:32:27
	v_add_nc_u32_e32 v82, 58, v81
	v_add_nc_u32_e32 v81, 60, v81
	s_delay_alu instid0(VALU_DEP_2) | instskip(NEXT) | instid1(VALU_DEP_2)
	.loc	1 36 40                         ; attention_fwd.py:36:40
	v_cmp_le_i32_e64 s90, s100, v82
	v_cmp_le_i32_e64 s94, s100, v81
	.loc	1 38 45                         ; attention_fwd.py:38:45
	v_cmp_lt_i32_e64 s95, v114, v81
	.loc	1 33 39                         ; attention_fwd.py:33:39
	v_add_nc_u32_e32 v81, s103, v113
	.loc	1 38 45                         ; attention_fwd.py:38:45
	v_cmp_lt_i32_e64 s91, v114, v82
	.loc	1 38 66 is_stmt 0               ; attention_fwd.py:38:66
	v_cndmask_b32_e64 v82, v79, 0xff800000, s1
	s_or_b32 s1, s79, s78
	.loc	1 36 40 is_stmt 1               ; attention_fwd.py:36:40
	v_cmp_le_i32_e64 s96, s100, v81
	.loc	1 38 45                         ; attention_fwd.py:38:45
	v_cmp_lt_i32_e64 s97, v114, v81
.Ltmp3:
	.loc	2 170 27                        ; standard.py:170:27 @[ standard.py:191:40 @[ attention_fwd.py:39:42 ] ]
	v_max_f32_e32 v81, v89, v90
	s_delay_alu instid0(VALU_DEP_1) | instskip(NEXT) | instid1(VALU_DEP_1)
	v_max3_f32 v81, v81, v91, v92
	v_max3_f32 v81, v81, v93, v94
	s_delay_alu instid0(VALU_DEP_1) | instskip(SKIP_2) | instid1(SALU_CYCLE_1)
	v_max3_f32 v64, v81, v95, v96
.Ltmp4:
	.loc	1 38 66                         ; attention_fwd.py:38:66
	v_cndmask_b32_e64 v81, v80, 0xff800000, s1
	s_or_b32 s1, s81, s80
	v_cndmask_b32_e64 v80, v97, 0xff800000, s1
	s_delay_alu instid0(VALU_DEP_3) | instskip(SKIP_1) | instid1(SALU_CYCLE_1)
.Ltmp5:
	.loc	2 170 27                        ; standard.py:170:27 @[ standard.py:191:40 @[ attention_fwd.py:39:42 ] ]
	v_max3_f32 v64, v64, v125, v126
.Ltmp6:
	.loc	1 38 66                         ; attention_fwd.py:38:66
	s_or_b32 s1, s83, s82
	v_cndmask_b32_e64 v79, v98, 0xff800000, s1
	s_or_b32 s1, s85, s84
	s_delay_alu instid0(VALU_DEP_2) | instskip(SKIP_2) | instid1(SALU_CYCLE_1)
.Ltmp7:
	.loc	2 170 27                        ; standard.py:170:27 @[ standard.py:191:40 @[ attention_fwd.py:39:42 ] ]
	v_max3_f32 v64, v64, v127, v128
.Ltmp8:
	.loc	1 38 66                         ; attention_fwd.py:38:66
	v_cndmask_b32_e64 v78, v104, 0xff800000, s1
	s_or_b32 s1, s87, s86
	v_cndmask_b32_e64 v77, v109, 0xff800000, s1
	s_delay_alu instid0(VALU_DEP_3) | instskip(SKIP_1) | instid1(SALU_CYCLE_1)
.Ltmp9:
	.loc	2 170 27                        ; standard.py:170:27 @[ standard.py:191:40 @[ attention_fwd.py:39:42 ] ]
	v_max3_f32 v64, v64, v129, v130
.Ltmp10:
	.loc	1 38 66                         ; attention_fwd.py:38:66
	s_or_b32 s1, s89, s88
	v_cndmask_b32_e64 v76, v122, 0xff800000, s1
	s_or_b32 s1, s91, s90
	s_delay_alu instid0(VALU_DEP_2) | instskip(SKIP_2) | instid1(SALU_CYCLE_1)
.Ltmp11:
	.loc	2 170 27                        ; standard.py:170:27 @[ standard.py:191:40 @[ attention_fwd.py:39:42 ] ]
	v_max3_f32 v64, v64, v131, v132
.Ltmp12:
	.loc	1 38 66                         ; attention_fwd.py:38:66
	v_cndmask_b32_e64 v75, v123, 0xff800000, s1
	s_or_b32 s1, s95, s94
	v_cndmask_b32_e64 v74, v124, 0xff800000, s1
	s_delay_alu instid0(VALU_DEP_3) | instskip(SKIP_1) | instid1(SALU_CYCLE_1)
.Ltmp13:
	.loc	2 170 27                        ; standard.py:170:27 @[ standard.py:191:40 @[ attention_fwd.py:39:42 ] ]
	v_max3_f32 v64, v64, v133, v87
.Ltmp14:
	.loc	1 38 66                         ; attention_fwd.py:38:66
	s_or_b32 s1, s97, s96
	v_cndmask_b32_e64 v73, v88, 0xff800000, s1
	s_delay_alu instid0(VALU_DEP_2) | instskip(NEXT) | instid1(VALU_DEP_1)
.Ltmp15:
	.loc	2 170 27                        ; standard.py:170:27 @[ standard.py:191:40 @[ attention_fwd.py:39:42 ] ]
	v_max3_f32 v64, v64, v86, v85
	v_max3_f32 v64, v64, v84, v83
	s_delay_alu instid0(VALU_DEP_1) | instskip(NEXT) | instid1(VALU_DEP_1)
	v_max3_f32 v64, v64, v82, v81
	v_max3_f32 v64, v64, v80, v79
	s_delay_alu instid0(VALU_DEP_1) | instskip(NEXT) | instid1(VALU_DEP_1)
	;; [unrolled: 3-line block ×3, first 2 shown]
	v_max3_f32 v64, v64, v74, v73
.Ltmp16:
	.loc	2 191 40                        ; standard.py:191:40 @[ attention_fwd.py:39:42 ]
	v_permlanex16_b32 v65, v64, vcc_hi, 0xfedcba98 op_sel:[1,0]
	s_delay_alu instid0(VALU_DEP_1) | instskip(NEXT) | instid1(VALU_DEP_1)
.Ltmp17:
	.loc	1 39 31                         ; attention_fwd.py:39:31
	v_max3_f32 v109, v72, v64, v65
	.loc	1 40 24                         ; attention_fwd.py:40:24
	v_sub_f32_e32 v64, v89, v109
	v_sub_f32_e32 v82, v82, v109
	;; [unrolled: 1-line block ×4, first 2 shown]
	s_delay_alu instid0(VALU_DEP_4)
	v_dual_sub_f32 v80, v80, v109 :: v_dual_mul_f32 v65, 0x3fb8aa3b, v64
	v_sub_f32_e32 v78, v78, v109
	v_sub_f32_e32 v76, v76, v109
	;; [unrolled: 1-line block ×4, first 2 shown]
	.loc	1 40 19 is_stmt 0               ; attention_fwd.py:40:19
	v_cmp_gt_f32_e64 s34, 0xc2fc0000, v65
	.loc	1 40 24                         ; attention_fwd.py:40:24
	v_sub_f32_e32 v85, v85, v109
	v_sub_f32_e32 v83, v83, v109
	;; [unrolled: 1-line block ×4, first 2 shown]
	.loc	1 40 19                         ; attention_fwd.py:40:19
	v_cndmask_b32_e64 v65, 0, 0x42800000, s34
	.loc	1 40 24                         ; attention_fwd.py:40:24
	v_sub_f32_e32 v77, v77, v109
	v_sub_f32_e32 v75, v75, v109
	;; [unrolled: 1-line block ×3, first 2 shown]
	s_delay_alu instid0(VALU_DEP_4) | instskip(NEXT) | instid1(VALU_DEP_1)
	.loc	1 40 19                         ; attention_fwd.py:40:19
	v_dual_fmac_f32 v65, 0x3fb8aa3b, v64 :: v_dual_sub_f32 v64, v90, v109
	v_mul_f32_e32 v66, 0x3fb8aa3b, v64
	s_delay_alu instid0(VALU_DEP_1) | instskip(NEXT) | instid1(VALU_DEP_1)
	v_cmp_gt_f32_e64 s35, 0xc2fc0000, v66
	v_cndmask_b32_e64 v66, 0, 0x42800000, s35
	s_delay_alu instid0(VALU_DEP_1)
	v_fmac_f32_e32 v66, 0x3fb8aa3b, v64
	v_exp_f32_e32 v64, v65
	v_cndmask_b32_e64 v65, 0, 0xffffffc0, s34
	s_waitcnt_depctr depctr_va_vdst(0)
	v_ldexp_f32 v64, v64, v65
	.loc	1 40 24                         ; attention_fwd.py:40:24
	v_sub_f32_e32 v65, v91, v109
	s_delay_alu instid0(VALU_DEP_1) | instskip(NEXT) | instid1(VALU_DEP_1)
	.loc	1 40 19                         ; attention_fwd.py:40:19
	v_mul_f32_e32 v67, 0x3fb8aa3b, v65
	v_cmp_gt_f32_e64 s34, 0xc2fc0000, v67
	s_delay_alu instid0(VALU_DEP_1) | instskip(NEXT) | instid1(VALU_DEP_1)
	v_cndmask_b32_e64 v67, 0, 0x42800000, s34
	v_fmac_f32_e32 v67, 0x3fb8aa3b, v65
	.loc	1 40 24                         ; attention_fwd.py:40:24
	v_sub_f32_e32 v65, v92, v109
	s_delay_alu instid0(VALU_DEP_1) | instskip(NEXT) | instid1(VALU_DEP_1)
	.loc	1 40 19                         ; attention_fwd.py:40:19
	v_mul_f32_e32 v68, 0x3fb8aa3b, v65
	v_cmp_gt_f32_e64 s36, 0xc2fc0000, v68
	s_delay_alu instid0(VALU_DEP_1) | instskip(NEXT) | instid1(VALU_DEP_1)
	v_cndmask_b32_e64 v68, 0, 0x42800000, s36
	v_fmac_f32_e32 v68, 0x3fb8aa3b, v65
	.loc	1 40 24                         ; attention_fwd.py:40:24
	v_sub_f32_e32 v65, v93, v109
	s_delay_alu instid0(VALU_DEP_1) | instskip(NEXT) | instid1(VALU_DEP_1)
	.loc	1 40 19                         ; attention_fwd.py:40:19
	v_mul_f32_e32 v69, 0x3fb8aa3b, v65
	v_cmp_gt_f32_e64 s37, 0xc2fc0000, v69
	s_delay_alu instid0(VALU_DEP_1) | instskip(NEXT) | instid1(VALU_DEP_1)
	v_cndmask_b32_e64 v69, 0, 0x42800000, s37
	v_fmac_f32_e32 v69, 0x3fb8aa3b, v65
	v_exp_f32_e32 v65, v66
	v_cndmask_b32_e64 v66, 0, 0xffffffc0, s35
	s_waitcnt_depctr depctr_va_vdst(0)
	v_ldexp_f32 v65, v65, v66
	.loc	1 40 24                         ; attention_fwd.py:40:24
	v_sub_f32_e32 v66, v94, v109
	s_delay_alu instid0(VALU_DEP_1) | instskip(NEXT) | instid1(VALU_DEP_1)
	.loc	1 40 19                         ; attention_fwd.py:40:19
	v_mul_f32_e32 v70, 0x3fb8aa3b, v66
	v_cmp_gt_f32_e64 s35, 0xc2fc0000, v70
	s_delay_alu instid0(VALU_DEP_1) | instskip(NEXT) | instid1(VALU_DEP_1)
	v_cndmask_b32_e64 v70, 0, 0x42800000, s35
	v_fmac_f32_e32 v70, 0x3fb8aa3b, v66
	v_exp_f32_e32 v66, v67
	v_cndmask_b32_e64 v67, 0, 0xffffffc0, s34
	s_waitcnt_depctr depctr_va_vdst(0)
	v_ldexp_f32 v66, v66, v67
	v_exp_f32_e32 v67, v68
	v_cndmask_b32_e64 v68, 0, 0xffffffc0, s36
	s_waitcnt_depctr depctr_va_vdst(0)
	v_ldexp_f32 v67, v67, v68
	;; [unrolled: 4-line block ×3, first 2 shown]
	.loc	1 40 24                         ; attention_fwd.py:40:24
	v_sub_f32_e32 v69, v95, v109
	s_delay_alu instid0(VALU_DEP_1) | instskip(NEXT) | instid1(VALU_DEP_1)
	.loc	1 40 19                         ; attention_fwd.py:40:19
	v_mul_f32_e32 v71, 0x3fb8aa3b, v69
	v_cmp_gt_f32_e64 s34, 0xc2fc0000, v71
	s_delay_alu instid0(VALU_DEP_1) | instskip(NEXT) | instid1(VALU_DEP_1)
	v_cndmask_b32_e64 v71, 0, 0x42800000, s34
	v_fmac_f32_e32 v71, 0x3fb8aa3b, v69
	v_exp_f32_e32 v69, v70
	v_cndmask_b32_e64 v70, 0, 0xffffffc0, s35
	s_waitcnt_depctr depctr_va_vdst(0)
	v_ldexp_f32 v69, v69, v70
	.loc	1 40 24                         ; attention_fwd.py:40:24
	v_sub_f32_e32 v70, v96, v109
	s_delay_alu instid0(VALU_DEP_1) | instskip(NEXT) | instid1(VALU_DEP_1)
	.loc	1 40 19                         ; attention_fwd.py:40:19
	v_mul_f32_e32 v88, 0x3fb8aa3b, v70
	v_cmp_gt_f32_e64 s35, 0xc2fc0000, v88
	s_delay_alu instid0(VALU_DEP_1) | instskip(NEXT) | instid1(VALU_DEP_1)
	v_cndmask_b32_e64 v88, 0, 0x42800000, s35
	v_fmac_f32_e32 v88, 0x3fb8aa3b, v70
	.loc	1 40 24                         ; attention_fwd.py:40:24
	v_sub_f32_e32 v70, v125, v109
	s_delay_alu instid0(VALU_DEP_1) | instskip(NEXT) | instid1(VALU_DEP_1)
	.loc	1 40 19                         ; attention_fwd.py:40:19
	v_mul_f32_e32 v89, 0x3fb8aa3b, v70
	v_cmp_gt_f32_e64 s36, 0xc2fc0000, v89
	s_delay_alu instid0(VALU_DEP_1) | instskip(NEXT) | instid1(VALU_DEP_1)
	v_cndmask_b32_e64 v89, 0, 0x42800000, s36
	v_dual_fmac_f32 v89, 0x3fb8aa3b, v70 :: v_dual_sub_f32 v70, v126, v109
	s_delay_alu instid0(VALU_DEP_1) | instskip(NEXT) | instid1(VALU_DEP_1)
	v_mul_f32_e32 v90, 0x3fb8aa3b, v70
	v_cmp_gt_f32_e64 s37, 0xc2fc0000, v90
	s_delay_alu instid0(VALU_DEP_1) | instskip(NEXT) | instid1(VALU_DEP_1)
	v_cndmask_b32_e64 v90, 0, 0x42800000, s37
	v_fmac_f32_e32 v90, 0x3fb8aa3b, v70
	v_exp_f32_e32 v70, v71
	v_cndmask_b32_e64 v71, 0, 0xffffffc0, s34
	s_waitcnt_depctr depctr_va_vdst(0)
	v_ldexp_f32 v70, v70, v71
	.loc	1 40 24                         ; attention_fwd.py:40:24
	v_sub_f32_e32 v71, v127, v109
	s_delay_alu instid0(VALU_DEP_1) | instskip(NEXT) | instid1(VALU_DEP_1)
	.loc	1 40 19                         ; attention_fwd.py:40:19
	v_mul_f32_e32 v91, 0x3fb8aa3b, v71
	v_cmp_gt_f32_e64 s34, 0xc2fc0000, v91
	s_delay_alu instid0(VALU_DEP_1) | instskip(NEXT) | instid1(VALU_DEP_1)
	v_cndmask_b32_e64 v91, 0, 0x42800000, s34
	v_fmac_f32_e32 v91, 0x3fb8aa3b, v71
	v_exp_f32_e32 v71, v88
	v_cndmask_b32_e64 v88, 0, 0xffffffc0, s35
	s_waitcnt_depctr depctr_va_vdst(0)
	v_ldexp_f32 v71, v71, v88
	v_exp_f32_e32 v88, v89
	v_cndmask_b32_e64 v89, 0, 0xffffffc0, s36
	s_waitcnt_depctr depctr_va_vdst(0)
	v_ldexp_f32 v241, v88, v89
	v_exp_f32_e32 v88, v90
	v_cndmask_b32_e64 v89, 0, 0xffffffc0, s37
	v_cndmask_b32_e64 v90, 0, 0xffffffc0, s34
	s_waitcnt_depctr depctr_va_vdst(0)
	v_ldexp_f32 v244, v88, v89
	.loc	1 40 24                         ; attention_fwd.py:40:24
	v_sub_f32_e32 v88, v128, v109
	s_delay_alu instid0(VALU_DEP_1) | instskip(NEXT) | instid1(VALU_DEP_1)
	.loc	1 40 19                         ; attention_fwd.py:40:19
	v_mul_f32_e32 v89, 0x3fb8aa3b, v88
	v_cmp_gt_f32_e64 s35, 0xc2fc0000, v89
	s_delay_alu instid0(VALU_DEP_1) | instskip(NEXT) | instid1(VALU_DEP_1)
	v_cndmask_b32_e64 v89, 0, 0x42800000, s35
	v_fmac_f32_e32 v89, 0x3fb8aa3b, v88
	v_exp_f32_e32 v88, v91
	s_waitcnt_depctr depctr_va_vdst(0)
	v_ldexp_f32 v246, v88, v90
	.loc	1 40 24                         ; attention_fwd.py:40:24
	v_sub_f32_e32 v88, v129, v109
	s_delay_alu instid0(VALU_DEP_1) | instskip(NEXT) | instid1(VALU_DEP_1)
	.loc	1 40 19                         ; attention_fwd.py:40:19
	v_mul_f32_e32 v90, 0x3fb8aa3b, v88
	v_cmp_gt_f32_e64 s34, 0xc2fc0000, v90
	s_delay_alu instid0(VALU_DEP_1) | instskip(NEXT) | instid1(VALU_DEP_1)
	v_cndmask_b32_e64 v90, 0, 0x42800000, s34
	v_fmac_f32_e32 v90, 0x3fb8aa3b, v88
	.loc	1 40 24                         ; attention_fwd.py:40:24
	v_sub_f32_e32 v88, v130, v109
	s_delay_alu instid0(VALU_DEP_1) | instskip(NEXT) | instid1(VALU_DEP_1)
	.loc	1 40 19                         ; attention_fwd.py:40:19
	v_mul_f32_e32 v91, 0x3fb8aa3b, v88
	v_cmp_gt_f32_e64 s36, 0xc2fc0000, v91
	s_delay_alu instid0(VALU_DEP_1) | instskip(NEXT) | instid1(VALU_DEP_1)
	v_cndmask_b32_e64 v91, 0, 0x42800000, s36
	v_dual_fmac_f32 v91, 0x3fb8aa3b, v88 :: v_dual_sub_f32 v88, v131, v109
	s_delay_alu instid0(VALU_DEP_1) | instskip(NEXT) | instid1(VALU_DEP_1)
	v_mul_f32_e32 v92, 0x3fb8aa3b, v88
	v_cmp_gt_f32_e64 s37, 0xc2fc0000, v92
	s_delay_alu instid0(VALU_DEP_1) | instskip(NEXT) | instid1(VALU_DEP_1)
	v_cndmask_b32_e64 v92, 0, 0x42800000, s37
	v_fmac_f32_e32 v92, 0x3fb8aa3b, v88
	v_exp_f32_e32 v88, v89
	v_cndmask_b32_e64 v89, 0, 0xffffffc0, s35
	s_waitcnt_depctr depctr_va_vdst(0)
	v_ldexp_f32 v122, v88, v89
	.loc	1 40 24                         ; attention_fwd.py:40:24
	v_sub_f32_e32 v88, v132, v109
	s_delay_alu instid0(VALU_DEP_1) | instskip(NEXT) | instid1(VALU_DEP_1)
	.loc	1 40 19                         ; attention_fwd.py:40:19
	v_mul_f32_e32 v89, 0x3fb8aa3b, v88
	v_cmp_gt_f32_e64 s35, 0xc2fc0000, v89
	s_delay_alu instid0(VALU_DEP_1) | instskip(NEXT) | instid1(VALU_DEP_1)
	v_cndmask_b32_e64 v89, 0, 0x42800000, s35
	v_fmac_f32_e32 v89, 0x3fb8aa3b, v88
	v_exp_f32_e32 v88, v90
	v_cndmask_b32_e64 v90, 0, 0xffffffc0, s34
	s_waitcnt_depctr depctr_va_vdst(0)
	v_ldexp_f32 v253, v88, v90
	v_exp_f32_e32 v88, v91
	v_cndmask_b32_e64 v90, 0, 0xffffffc0, s36
	s_waitcnt_depctr depctr_va_vdst(0)
	v_ldexp_f32 v123, v88, v90
	;; [unrolled: 4-line block ×3, first 2 shown]
	.loc	1 40 24                         ; attention_fwd.py:40:24
	v_sub_f32_e32 v88, v133, v109
	s_delay_alu instid0(VALU_DEP_1) | instskip(NEXT) | instid1(VALU_DEP_1)
	.loc	1 40 19                         ; attention_fwd.py:40:19
	v_mul_f32_e32 v90, 0x3fb8aa3b, v88
	v_cmp_gt_f32_e64 s34, 0xc2fc0000, v90
	s_delay_alu instid0(VALU_DEP_1) | instskip(NEXT) | instid1(VALU_DEP_1)
	v_cndmask_b32_e64 v90, 0, 0x42800000, s34
	v_fmac_f32_e32 v90, 0x3fb8aa3b, v88
	v_exp_f32_e32 v88, v89
	v_cndmask_b32_e64 v89, 0, 0xffffffc0, s35
	s_waitcnt_depctr depctr_va_vdst(0)
	v_ldexp_f32 v132, v88, v89
	v_mul_f32_e32 v88, 0x3fb8aa3b, v87
	v_cndmask_b32_e64 v89, 0, 0xffffffc0, s34
	s_delay_alu instid0(VALU_DEP_2) | instskip(NEXT) | instid1(VALU_DEP_1)
	v_cmp_gt_f32_e64 s35, 0xc2fc0000, v88
	v_cndmask_b32_e64 v88, 0, 0x42800000, s35
	s_delay_alu instid0(VALU_DEP_1) | instskip(NEXT) | instid1(VALU_DEP_1)
	v_dual_fmac_f32 v88, 0x3fb8aa3b, v87 :: v_dual_mul_f32 v87, 0x3fb8aa3b, v86
	v_cmp_gt_f32_e64 s36, 0xc2fc0000, v87
	s_delay_alu instid0(VALU_DEP_1) | instskip(NEXT) | instid1(VALU_DEP_1)
	v_cndmask_b32_e64 v87, 0, 0x42800000, s36
	v_fmac_f32_e32 v87, 0x3fb8aa3b, v86
	v_exp_f32_e32 v86, v90
	s_waitcnt_depctr depctr_va_vdst(0)
	v_ldexp_f32 v245, v86, v89
	v_mul_f32_e32 v86, 0x3fb8aa3b, v85
	s_delay_alu instid0(VALU_DEP_1) | instskip(NEXT) | instid1(VALU_DEP_1)
	v_cmp_gt_f32_e64 s34, 0xc2fc0000, v86
	v_cndmask_b32_e64 v86, 0, 0x42800000, s34
	s_delay_alu instid0(VALU_DEP_1)
	v_fmac_f32_e32 v86, 0x3fb8aa3b, v85
	v_exp_f32_e32 v85, v88
	v_cndmask_b32_e64 v88, 0, 0xffffffc0, s35
	s_waitcnt_depctr depctr_va_vdst(0)
	v_ldexp_f32 v249, v85, v88
	v_exp_f32_e32 v85, v87
	v_cndmask_b32_e64 v87, 0, 0xffffffc0, s36
	s_waitcnt_depctr depctr_va_vdst(0)
	v_ldexp_f32 v247, v85, v87
	v_mul_f32_e32 v85, 0x3fb8aa3b, v84
	s_delay_alu instid0(VALU_DEP_1) | instskip(NEXT) | instid1(VALU_DEP_1)
	v_cmp_gt_f32_e64 s35, 0xc2fc0000, v85
	v_cndmask_b32_e64 v85, 0, 0x42800000, s35
	s_delay_alu instid0(VALU_DEP_1)
	v_fmac_f32_e32 v85, 0x3fb8aa3b, v84
	v_exp_f32_e32 v84, v86
	v_cndmask_b32_e64 v86, 0, 0xffffffc0, s34
	s_waitcnt_depctr depctr_va_vdst(0)
	v_ldexp_f32 v250, v84, v86
	v_mul_f32_e32 v84, 0x3fb8aa3b, v83
	s_delay_alu instid0(VALU_DEP_1) | instskip(NEXT) | instid1(VALU_DEP_1)
	v_cmp_gt_f32_e64 s34, 0xc2fc0000, v84
	v_cndmask_b32_e64 v84, 0, 0x42800000, s34
	s_delay_alu instid0(VALU_DEP_1) | instskip(NEXT) | instid1(VALU_DEP_1)
	v_dual_fmac_f32 v84, 0x3fb8aa3b, v83 :: v_dual_mul_f32 v83, 0x3fb8aa3b, v82
	v_cmp_gt_f32_e64 s36, 0xc2fc0000, v83
	s_delay_alu instid0(VALU_DEP_1) | instskip(NEXT) | instid1(VALU_DEP_1)
	v_cndmask_b32_e64 v83, 0, 0x42800000, s36
	v_fmac_f32_e32 v83, 0x3fb8aa3b, v82
	v_exp_f32_e32 v82, v85
	v_cndmask_b32_e64 v85, 0, 0xffffffc0, s35
	s_waitcnt_depctr depctr_va_vdst(0)
	v_ldexp_f32 v252, v82, v85
	v_mul_f32_e32 v82, 0x3fb8aa3b, v81
	s_delay_alu instid0(VALU_DEP_1) | instskip(NEXT) | instid1(VALU_DEP_1)
	v_cmp_gt_f32_e64 s35, 0xc2fc0000, v82
	v_cndmask_b32_e64 v82, 0, 0x42800000, s35
	s_delay_alu instid0(VALU_DEP_1)
	v_fmac_f32_e32 v82, 0x3fb8aa3b, v81
	v_exp_f32_e32 v81, v84
	v_cndmask_b32_e64 v84, 0, 0xffffffc0, s34
	s_waitcnt_depctr depctr_va_vdst(0)
	v_ldexp_f32 v124, v81, v84
	v_exp_f32_e32 v81, v83
	v_cndmask_b32_e64 v83, 0, 0xffffffc0, s36
	s_waitcnt_depctr depctr_va_vdst(0)
	v_ldexp_f32 v254, v81, v83
	v_mul_f32_e32 v81, 0x3fb8aa3b, v80
	s_delay_alu instid0(VALU_DEP_1) | instskip(NEXT) | instid1(VALU_DEP_1)
	v_cmp_gt_f32_e64 s34, 0xc2fc0000, v81
	v_cndmask_b32_e64 v81, 0, 0x42800000, s34
	s_delay_alu instid0(VALU_DEP_1)
	v_fmac_f32_e32 v81, 0x3fb8aa3b, v80
	v_exp_f32_e32 v80, v82
	v_cndmask_b32_e64 v82, 0, 0xffffffc0, s35
	s_waitcnt_depctr depctr_va_vdst(0)
	v_ldexp_f32 v125, v80, v82
	v_mul_f32_e32 v80, 0x3fb8aa3b, v79
	s_delay_alu instid0(VALU_DEP_1) | instskip(NEXT) | instid1(VALU_DEP_1)
	v_cmp_gt_f32_e64 s35, 0xc2fc0000, v80
	v_cndmask_b32_e64 v80, 0, 0x42800000, s35
	s_delay_alu instid0(VALU_DEP_1) | instskip(NEXT) | instid1(VALU_DEP_1)
	v_dual_fmac_f32 v80, 0x3fb8aa3b, v79 :: v_dual_mul_f32 v79, 0x3fb8aa3b, v78
	v_cmp_gt_f32_e64 s36, 0xc2fc0000, v79
	s_delay_alu instid0(VALU_DEP_1) | instskip(NEXT) | instid1(VALU_DEP_1)
	v_cndmask_b32_e64 v79, 0, 0x42800000, s36
	v_fmac_f32_e32 v79, 0x3fb8aa3b, v78
	v_exp_f32_e32 v78, v81
	v_cndmask_b32_e64 v81, 0, 0xffffffc0, s34
	;; [unrolled: 38-line block ×3, first 2 shown]
	s_waitcnt_depctr depctr_va_vdst(0)
	v_ldexp_f32 v235, v74, v77
	v_mul_f32_e32 v74, 0x3fb8aa3b, v73
	s_delay_alu instid0(VALU_DEP_1) | instskip(NEXT) | instid1(VALU_DEP_1)
	v_cmp_gt_f32_e64 s35, 0xc2fc0000, v74
	v_cndmask_b32_e64 v74, 0, 0x42800000, s35
	s_delay_alu instid0(VALU_DEP_1)
	v_fmac_f32_e32 v74, 0x3fb8aa3b, v73
	v_exp_f32_e32 v73, v76
	v_cndmask_b32_e64 v76, 0, 0xffffffc0, s34
	s_waitcnt_depctr depctr_va_vdst(0)
	v_ldexp_f32 v238, v73, v76
	v_exp_f32_e32 v73, v75
	v_cndmask_b32_e64 v75, 0, 0xffffffc0, s36
	s_waitcnt_depctr depctr_va_vdst(0)
	v_ldexp_f32 v236, v73, v75
	;; [unrolled: 4-line block ×3, first 2 shown]
.Ltmp18:
	.loc	2 263 15 is_stmt 1              ; standard.py:263:15 @[ standard.py:293:36 @[ attention_fwd.py:42:38 ] ]
	v_add_f32_e32 v73, v64, v65
	s_delay_alu instid0(VALU_DEP_1) | instskip(NEXT) | instid1(VALU_DEP_1)
	v_add_f32_e32 v73, v66, v73
	v_add_f32_e32 v73, v67, v73
	s_delay_alu instid0(VALU_DEP_1) | instskip(NEXT) | instid1(VALU_DEP_1)
	v_add_f32_e32 v73, v68, v73
	;; [unrolled: 3-line block ×15, first 2 shown]
	v_add_f32_e32 v228, v237, v73
	s_delay_alu instid0(VALU_DEP_1)
.Ltmp19:
	.loc	2 293 36                        ; standard.py:293:36 @[ attention_fwd.py:42:38 ]
	v_permlanex16_b32 v229, v228, vcc_hi, 0xfedcba98 op_sel:[1,0]
.Ltmp20:
	.loc	1 45 20                         ; attention_fwd.py:45:20
	s_and_saveexec_b32 s1, vcc_lo
	s_cbranch_execz .LBB0_261
; %bb.260:                              ;   in Loop: Header=BB0_195 Depth=1
	.loc	1 0 20 is_stmt 0                ; attention_fwd.py:0:20
	v_add_nc_u32_e32 v73, s99, v184
	s_delay_alu instid0(VALU_DEP_1) | instskip(NEXT) | instid1(VALU_DEP_1)
	v_ashrrev_i32_e32 v74, 31, v73
	v_lshlrev_b64 v[73:74], 1, v[73:74]
	s_delay_alu instid0(VALU_DEP_1) | instskip(NEXT) | instid1(VALU_DEP_1)
	v_add_co_u32 v73, vcc_lo, v118, v73
	v_add_co_ci_u32_e64 v74, null, v119, v74, vcc_lo
	.loc	1 45 20                         ; attention_fwd.py:45:20
	global_load_u16 v226, v[73:74], off
.LBB0_261:                              ;   in Loop: Header=BB0_195 Depth=1
	.loc	1 0 20                          ; attention_fwd.py:0:20
	s_or_b32 exec_lo, exec_lo, s1
	v_mov_b32_e32 v232, 0
	v_mov_b32_e32 v234, 0
	.loc	1 45 20                         ; attention_fwd.py:45:20
	s_and_saveexec_b32 s1, s2
	s_cbranch_execz .LBB0_263
; %bb.262:                              ;   in Loop: Header=BB0_195 Depth=1
	.loc	1 44 39 is_stmt 1               ; attention_fwd.py:44:39
	scratch_load_b32 v73, off, off offset:240 ; 4-byte Folded Reload
	s_waitcnt vmcnt(0)
	v_add_nc_u32_e32 v73, s99, v73
	s_delay_alu instid0(VALU_DEP_1) | instskip(NEXT) | instid1(VALU_DEP_1)
	.loc	1 44 21 is_stmt 0               ; attention_fwd.py:44:21
	v_ashrrev_i32_e32 v74, 31, v73
	.loc	1 44 51                         ; attention_fwd.py:44:51
	v_lshlrev_b64 v[73:74], 1, v[73:74]
	s_delay_alu instid0(VALU_DEP_1) | instskip(NEXT) | instid1(VALU_DEP_1)
	v_add_co_u32 v73, vcc_lo, v118, v73
	v_add_co_ci_u32_e64 v74, null, v119, v74, vcc_lo
	.loc	1 45 20 is_stmt 1               ; attention_fwd.py:45:20
	global_load_u16 v234, v[73:74], off
.LBB0_263:                              ;   in Loop: Header=BB0_195 Depth=1
	.loc	1 0 20 is_stmt 0                ; attention_fwd.py:0:20
	s_or_b32 exec_lo, exec_lo, s1
	s_delay_alu instid0(SALU_CYCLE_1)
	.loc	1 45 20                         ; attention_fwd.py:45:20
	s_mov_b32 s1, exec_lo
	v_readlane_b32 s2, v255, 5
	s_mov_b64 s[42:43], s[10:11]
	s_mov_b64 s[40:41], s[8:9]
	;; [unrolled: 1-line block ×4, first 2 shown]
	s_and_b32 s2, s1, s2
	s_delay_alu instid0(SALU_CYCLE_1)
	s_mov_b32 exec_lo, s2
	s_cbranch_execz .LBB0_265
; %bb.264:                              ;   in Loop: Header=BB0_195 Depth=1
	.loc	1 44 39 is_stmt 1               ; attention_fwd.py:44:39
	scratch_load_b32 v73, off, off offset:232 ; 4-byte Folded Reload
	s_waitcnt vmcnt(0)
	v_add_nc_u32_e32 v73, s99, v73
	s_delay_alu instid0(VALU_DEP_1) | instskip(NEXT) | instid1(VALU_DEP_1)
	.loc	1 44 21 is_stmt 0               ; attention_fwd.py:44:21
	v_ashrrev_i32_e32 v74, 31, v73
	.loc	1 44 51                         ; attention_fwd.py:44:51
	v_lshlrev_b64 v[73:74], 1, v[73:74]
	s_delay_alu instid0(VALU_DEP_1) | instskip(NEXT) | instid1(VALU_DEP_1)
	v_add_co_u32 v73, vcc_lo, v118, v73
	v_add_co_ci_u32_e64 v74, null, v119, v74, vcc_lo
	.loc	1 45 20 is_stmt 1               ; attention_fwd.py:45:20
	global_load_u16 v232, v[73:74], off
.LBB0_265:                              ;   in Loop: Header=BB0_195 Depth=1
	.loc	1 0 20 is_stmt 0                ; attention_fwd.py:0:20
	s_or_b32 exec_lo, exec_lo, s1
	v_dual_mov_b32 v239, 0 :: v_dual_mov_b32 v240, 0
	.loc	1 45 20                         ; attention_fwd.py:45:20
	s_and_saveexec_b32 s1, s0
	s_cbranch_execz .LBB0_267
; %bb.266:                              ;   in Loop: Header=BB0_195 Depth=1
	.loc	1 44 39 is_stmt 1               ; attention_fwd.py:44:39
	scratch_load_b32 v73, off, off offset:224 ; 4-byte Folded Reload
	s_waitcnt vmcnt(0)
	v_add_nc_u32_e32 v73, s99, v73
	s_delay_alu instid0(VALU_DEP_1) | instskip(NEXT) | instid1(VALU_DEP_1)
	.loc	1 44 21 is_stmt 0               ; attention_fwd.py:44:21
	v_ashrrev_i32_e32 v74, 31, v73
	.loc	1 44 51                         ; attention_fwd.py:44:51
	v_lshlrev_b64 v[73:74], 1, v[73:74]
	s_delay_alu instid0(VALU_DEP_1) | instskip(NEXT) | instid1(VALU_DEP_1)
	v_add_co_u32 v73, vcc_lo, v118, v73
	v_add_co_ci_u32_e64 v74, null, v119, v74, vcc_lo
	.loc	1 45 20 is_stmt 1               ; attention_fwd.py:45:20
	global_load_u16 v240, v[73:74], off
.LBB0_267:                              ;   in Loop: Header=BB0_195 Depth=1
	.loc	1 0 20 is_stmt 0                ; attention_fwd.py:0:20
	s_or_b32 exec_lo, exec_lo, s1
	.loc	1 45 20                         ; attention_fwd.py:45:20
	s_and_saveexec_b32 s1, s104
	s_cbranch_execz .LBB0_269
; %bb.268:                              ;   in Loop: Header=BB0_195 Depth=1
	.loc	1 44 39 is_stmt 1               ; attention_fwd.py:44:39
	scratch_load_b32 v73, off, off offset:216 ; 4-byte Folded Reload
	s_waitcnt vmcnt(0)
	v_add_nc_u32_e32 v73, s99, v73
	s_delay_alu instid0(VALU_DEP_1) | instskip(NEXT) | instid1(VALU_DEP_1)
	.loc	1 44 21 is_stmt 0               ; attention_fwd.py:44:21
	v_ashrrev_i32_e32 v74, 31, v73
	.loc	1 44 51                         ; attention_fwd.py:44:51
	v_lshlrev_b64 v[73:74], 1, v[73:74]
	s_delay_alu instid0(VALU_DEP_1) | instskip(NEXT) | instid1(VALU_DEP_1)
	v_add_co_u32 v73, vcc_lo, v118, v73
	v_add_co_ci_u32_e64 v74, null, v119, v74, vcc_lo
	.loc	1 45 20 is_stmt 1               ; attention_fwd.py:45:20
	global_load_u16 v239, v[73:74], off
.LBB0_269:                              ;   in Loop: Header=BB0_195 Depth=1
	.loc	1 0 20 is_stmt 0                ; attention_fwd.py:0:20
	s_or_b32 exec_lo, exec_lo, s1
	v_dual_mov_b32 v242, 0 :: v_dual_mov_b32 v243, 0
	.loc	1 45 20                         ; attention_fwd.py:45:20
	s_and_saveexec_b32 s1, s101
	s_cbranch_execz .LBB0_271
; %bb.270:                              ;   in Loop: Header=BB0_195 Depth=1
	.loc	1 44 39 is_stmt 1               ; attention_fwd.py:44:39
	scratch_load_b32 v73, off, off offset:208 ; 4-byte Folded Reload
	s_waitcnt vmcnt(0)
	v_add_nc_u32_e32 v73, s99, v73
	s_delay_alu instid0(VALU_DEP_1) | instskip(NEXT) | instid1(VALU_DEP_1)
	.loc	1 44 21 is_stmt 0               ; attention_fwd.py:44:21
	v_ashrrev_i32_e32 v74, 31, v73
	.loc	1 44 51                         ; attention_fwd.py:44:51
	v_lshlrev_b64 v[73:74], 1, v[73:74]
	s_delay_alu instid0(VALU_DEP_1) | instskip(NEXT) | instid1(VALU_DEP_1)
	v_add_co_u32 v73, vcc_lo, v118, v73
	v_add_co_ci_u32_e64 v74, null, v119, v74, vcc_lo
	.loc	1 45 20 is_stmt 1               ; attention_fwd.py:45:20
	global_load_u16 v243, v[73:74], off
.LBB0_271:                              ;   in Loop: Header=BB0_195 Depth=1
	.loc	1 0 20 is_stmt 0                ; attention_fwd.py:0:20
	s_or_b32 exec_lo, exec_lo, s1
	.loc	1 45 20                         ; attention_fwd.py:45:20
	s_and_saveexec_b32 s1, s3
	s_cbranch_execz .LBB0_273
; %bb.272:                              ;   in Loop: Header=BB0_195 Depth=1
	.loc	1 44 39 is_stmt 1               ; attention_fwd.py:44:39
	scratch_load_b32 v73, off, off offset:200 ; 4-byte Folded Reload
	s_waitcnt vmcnt(0)
	v_add_nc_u32_e32 v73, s99, v73
	s_delay_alu instid0(VALU_DEP_1) | instskip(NEXT) | instid1(VALU_DEP_1)
	.loc	1 44 21 is_stmt 0               ; attention_fwd.py:44:21
	v_ashrrev_i32_e32 v74, 31, v73
	.loc	1 44 51                         ; attention_fwd.py:44:51
	v_lshlrev_b64 v[73:74], 1, v[73:74]
	s_delay_alu instid0(VALU_DEP_1) | instskip(NEXT) | instid1(VALU_DEP_1)
	v_add_co_u32 v73, vcc_lo, v118, v73
	v_add_co_ci_u32_e64 v74, null, v119, v74, vcc_lo
	.loc	1 45 20 is_stmt 1               ; attention_fwd.py:45:20
	global_load_u16 v242, v[73:74], off
.LBB0_273:                              ;   in Loop: Header=BB0_195 Depth=1
	.loc	1 0 20 is_stmt 0                ; attention_fwd.py:0:20
	s_or_b32 exec_lo, exec_lo, s1
	v_dual_mov_b32 v251, 0 :: v_dual_mov_b32 v248, 0
	.loc	1 45 20                         ; attention_fwd.py:45:20
	v_readlane_b32 s0, v255, 6
	s_and_saveexec_b32 s1, s0
	s_cbranch_execz .LBB0_275
; %bb.274:                              ;   in Loop: Header=BB0_195 Depth=1
	.loc	1 44 39 is_stmt 1               ; attention_fwd.py:44:39
	scratch_load_b32 v73, off, off offset:192 ; 4-byte Folded Reload
	s_waitcnt vmcnt(0)
	v_add_nc_u32_e32 v73, s99, v73
	s_delay_alu instid0(VALU_DEP_1) | instskip(NEXT) | instid1(VALU_DEP_1)
	.loc	1 44 21 is_stmt 0               ; attention_fwd.py:44:21
	v_ashrrev_i32_e32 v74, 31, v73
	.loc	1 44 51                         ; attention_fwd.py:44:51
	v_lshlrev_b64 v[73:74], 1, v[73:74]
	s_delay_alu instid0(VALU_DEP_1) | instskip(NEXT) | instid1(VALU_DEP_1)
	v_add_co_u32 v73, vcc_lo, v118, v73
	v_add_co_ci_u32_e64 v74, null, v119, v74, vcc_lo
	.loc	1 45 20 is_stmt 1               ; attention_fwd.py:45:20
	global_load_u16 v248, v[73:74], off
.LBB0_275:                              ;   in Loop: Header=BB0_195 Depth=1
	.loc	1 0 20 is_stmt 0                ; attention_fwd.py:0:20
	s_or_b32 exec_lo, exec_lo, s1
	.loc	1 45 20                         ; attention_fwd.py:45:20
	v_readlane_b32 s0, v255, 7
	s_and_saveexec_b32 s1, s0
	s_cbranch_execz .LBB0_277
; %bb.276:                              ;   in Loop: Header=BB0_195 Depth=1
	.loc	1 44 39 is_stmt 1               ; attention_fwd.py:44:39
	scratch_load_b32 v73, off, off offset:184 ; 4-byte Folded Reload
	s_waitcnt vmcnt(0)
	v_add_nc_u32_e32 v73, s99, v73
	s_delay_alu instid0(VALU_DEP_1) | instskip(NEXT) | instid1(VALU_DEP_1)
	.loc	1 44 21 is_stmt 0               ; attention_fwd.py:44:21
	v_ashrrev_i32_e32 v74, 31, v73
	.loc	1 44 51                         ; attention_fwd.py:44:51
	v_lshlrev_b64 v[73:74], 1, v[73:74]
	s_delay_alu instid0(VALU_DEP_1) | instskip(NEXT) | instid1(VALU_DEP_1)
	v_add_co_u32 v73, vcc_lo, v118, v73
	v_add_co_ci_u32_e64 v74, null, v119, v74, vcc_lo
	.loc	1 45 20 is_stmt 1               ; attention_fwd.py:45:20
	global_load_u16 v251, v[73:74], off
.LBB0_277:                              ;   in Loop: Header=BB0_195 Depth=1
	.loc	1 0 20 is_stmt 0                ; attention_fwd.py:0:20
	s_or_b32 exec_lo, exec_lo, s1
	v_dual_mov_b32 v126, 0 :: v_dual_mov_b32 v127, 0
	.loc	1 45 20                         ; attention_fwd.py:45:20
	v_readlane_b32 s0, v255, 8
	s_and_saveexec_b32 s1, s0
	s_cbranch_execz .LBB0_279
; %bb.278:                              ;   in Loop: Header=BB0_195 Depth=1
	.loc	1 44 39 is_stmt 1               ; attention_fwd.py:44:39
	scratch_load_b32 v73, off, off offset:176 ; 4-byte Folded Reload
	s_waitcnt vmcnt(0)
	v_add_nc_u32_e32 v73, s99, v73
	s_delay_alu instid0(VALU_DEP_1) | instskip(NEXT) | instid1(VALU_DEP_1)
	.loc	1 44 21 is_stmt 0               ; attention_fwd.py:44:21
	v_ashrrev_i32_e32 v74, 31, v73
	.loc	1 44 51                         ; attention_fwd.py:44:51
	v_lshlrev_b64 v[73:74], 1, v[73:74]
	s_delay_alu instid0(VALU_DEP_1) | instskip(NEXT) | instid1(VALU_DEP_1)
	v_add_co_u32 v73, vcc_lo, v118, v73
	v_add_co_ci_u32_e64 v74, null, v119, v74, vcc_lo
	.loc	1 45 20 is_stmt 1               ; attention_fwd.py:45:20
	global_load_u16 v127, v[73:74], off
.LBB0_279:                              ;   in Loop: Header=BB0_195 Depth=1
	.loc	1 0 20 is_stmt 0                ; attention_fwd.py:0:20
	s_or_b32 exec_lo, exec_lo, s1
	.loc	1 45 20                         ; attention_fwd.py:45:20
	v_readlane_b32 s0, v255, 9
	s_and_saveexec_b32 s1, s0
	s_cbranch_execz .LBB0_281
; %bb.280:                              ;   in Loop: Header=BB0_195 Depth=1
	.loc	1 44 39 is_stmt 1               ; attention_fwd.py:44:39
	scratch_load_b32 v73, off, off offset:168 ; 4-byte Folded Reload
	s_waitcnt vmcnt(0)
	v_add_nc_u32_e32 v73, s99, v73
	s_delay_alu instid0(VALU_DEP_1) | instskip(NEXT) | instid1(VALU_DEP_1)
	.loc	1 44 21 is_stmt 0               ; attention_fwd.py:44:21
	v_ashrrev_i32_e32 v74, 31, v73
	.loc	1 44 51                         ; attention_fwd.py:44:51
	v_lshlrev_b64 v[73:74], 1, v[73:74]
	s_delay_alu instid0(VALU_DEP_1) | instskip(NEXT) | instid1(VALU_DEP_1)
	v_add_co_u32 v73, vcc_lo, v118, v73
	v_add_co_ci_u32_e64 v74, null, v119, v74, vcc_lo
	.loc	1 45 20 is_stmt 1               ; attention_fwd.py:45:20
	global_load_u16 v126, v[73:74], off
.LBB0_281:                              ;   in Loop: Header=BB0_195 Depth=1
	.loc	1 0 20 is_stmt 0                ; attention_fwd.py:0:20
	s_or_b32 exec_lo, exec_lo, s1
	v_dual_mov_b32 v128, 0 :: v_dual_mov_b32 v129, 0
	.loc	1 45 20                         ; attention_fwd.py:45:20
	s_and_saveexec_b32 s1, s12
	s_cbranch_execz .LBB0_283
; %bb.282:                              ;   in Loop: Header=BB0_195 Depth=1
	.loc	1 44 39 is_stmt 1               ; attention_fwd.py:44:39
	scratch_load_b32 v73, off, off offset:160 ; 4-byte Folded Reload
	s_waitcnt vmcnt(0)
	v_add_nc_u32_e32 v73, s99, v73
	s_delay_alu instid0(VALU_DEP_1) | instskip(NEXT) | instid1(VALU_DEP_1)
	.loc	1 44 21 is_stmt 0               ; attention_fwd.py:44:21
	v_ashrrev_i32_e32 v74, 31, v73
	.loc	1 44 51                         ; attention_fwd.py:44:51
	v_lshlrev_b64 v[73:74], 1, v[73:74]
	s_delay_alu instid0(VALU_DEP_1) | instskip(NEXT) | instid1(VALU_DEP_1)
	v_add_co_u32 v73, vcc_lo, v118, v73
	v_add_co_ci_u32_e64 v74, null, v119, v74, vcc_lo
	.loc	1 45 20 is_stmt 1               ; attention_fwd.py:45:20
	global_load_u16 v129, v[73:74], off
.LBB0_283:                              ;   in Loop: Header=BB0_195 Depth=1
	.loc	1 0 20 is_stmt 0                ; attention_fwd.py:0:20
	s_or_b32 exec_lo, exec_lo, s1
	.loc	1 45 20                         ; attention_fwd.py:45:20
	s_and_saveexec_b32 s1, s13
	s_cbranch_execz .LBB0_285
; %bb.284:                              ;   in Loop: Header=BB0_195 Depth=1
	.loc	1 44 39 is_stmt 1               ; attention_fwd.py:44:39
	scratch_load_b32 v73, off, off offset:152 ; 4-byte Folded Reload
	s_waitcnt vmcnt(0)
	v_add_nc_u32_e32 v73, s99, v73
	s_delay_alu instid0(VALU_DEP_1) | instskip(NEXT) | instid1(VALU_DEP_1)
	.loc	1 44 21 is_stmt 0               ; attention_fwd.py:44:21
	v_ashrrev_i32_e32 v74, 31, v73
	.loc	1 44 51                         ; attention_fwd.py:44:51
	v_lshlrev_b64 v[73:74], 1, v[73:74]
	s_delay_alu instid0(VALU_DEP_1) | instskip(NEXT) | instid1(VALU_DEP_1)
	v_add_co_u32 v73, vcc_lo, v118, v73
	v_add_co_ci_u32_e64 v74, null, v119, v74, vcc_lo
	.loc	1 45 20 is_stmt 1               ; attention_fwd.py:45:20
	global_load_u16 v128, v[73:74], off
.LBB0_285:                              ;   in Loop: Header=BB0_195 Depth=1
	.loc	1 0 20 is_stmt 0                ; attention_fwd.py:0:20
	s_or_b32 exec_lo, exec_lo, s1
	v_dual_mov_b32 v130, 0 :: v_dual_mov_b32 v131, 0
	.loc	1 45 20                         ; attention_fwd.py:45:20
	s_and_saveexec_b32 s1, s14
	s_cbranch_execz .LBB0_287
; %bb.286:                              ;   in Loop: Header=BB0_195 Depth=1
	.loc	1 44 39 is_stmt 1               ; attention_fwd.py:44:39
	scratch_load_b32 v73, off, off offset:144 ; 4-byte Folded Reload
	s_waitcnt vmcnt(0)
	v_add_nc_u32_e32 v73, s99, v73
	s_delay_alu instid0(VALU_DEP_1) | instskip(NEXT) | instid1(VALU_DEP_1)
	.loc	1 44 21 is_stmt 0               ; attention_fwd.py:44:21
	v_ashrrev_i32_e32 v74, 31, v73
	.loc	1 44 51                         ; attention_fwd.py:44:51
	v_lshlrev_b64 v[73:74], 1, v[73:74]
	s_delay_alu instid0(VALU_DEP_1) | instskip(NEXT) | instid1(VALU_DEP_1)
	v_add_co_u32 v73, vcc_lo, v118, v73
	v_add_co_ci_u32_e64 v74, null, v119, v74, vcc_lo
	.loc	1 45 20 is_stmt 1               ; attention_fwd.py:45:20
	global_load_u16 v131, v[73:74], off
.LBB0_287:                              ;   in Loop: Header=BB0_195 Depth=1
	.loc	1 0 20 is_stmt 0                ; attention_fwd.py:0:20
	s_or_b32 exec_lo, exec_lo, s1
	.loc	1 45 20                         ; attention_fwd.py:45:20
	;; [unrolled: 43-line block ×9, first 2 shown]
	s_and_saveexec_b32 s1, s29
	s_cbranch_execz .LBB0_317
; %bb.316:                              ;   in Loop: Header=BB0_195 Depth=1
	.loc	1 44 39 is_stmt 1               ; attention_fwd.py:44:39
	scratch_load_b32 v73, off, off offset:24 ; 4-byte Folded Reload
	s_waitcnt vmcnt(0)
	v_add_nc_u32_e32 v73, s99, v73
	s_delay_alu instid0(VALU_DEP_1) | instskip(NEXT) | instid1(VALU_DEP_1)
	.loc	1 44 21 is_stmt 0               ; attention_fwd.py:44:21
	v_ashrrev_i32_e32 v74, 31, v73
	.loc	1 44 51                         ; attention_fwd.py:44:51
	v_lshlrev_b64 v[73:74], 1, v[73:74]
	s_delay_alu instid0(VALU_DEP_1) | instskip(NEXT) | instid1(VALU_DEP_1)
	v_add_co_u32 v73, vcc_lo, v118, v73
	v_add_co_ci_u32_e64 v74, null, v119, v74, vcc_lo
	.loc	1 45 20 is_stmt 1               ; attention_fwd.py:45:20
	global_load_u16 v145, v[73:74], off
.LBB0_317:                              ;   in Loop: Header=BB0_195 Depth=1
	.loc	1 0 20 is_stmt 0                ; attention_fwd.py:0:20
	s_or_b32 exec_lo, exec_lo, s1
	v_dual_mov_b32 v147, 0 :: v_dual_mov_b32 v148, 0
	.loc	1 45 20                         ; attention_fwd.py:45:20
	s_and_saveexec_b32 s1, s30
	s_cbranch_execnz .LBB0_320
; %bb.318:                              ;   in Loop: Header=BB0_195 Depth=1
	.loc	1 0 20                          ; attention_fwd.py:0:20
	s_or_b32 exec_lo, exec_lo, s1
	.loc	1 45 20                         ; attention_fwd.py:45:20
	s_and_saveexec_b32 s1, s31
	s_cbranch_execnz .LBB0_321
.LBB0_319:                              ;   in Loop: Header=BB0_195 Depth=1
	.loc	1 0 20                          ; attention_fwd.py:0:20
	s_or_b32 exec_lo, exec_lo, s1
	v_mov_b32_e32 v149, 0
	.loc	1 45 20                         ; attention_fwd.py:45:20
	s_and_saveexec_b32 s1, s33
	s_cbranch_execz .LBB0_194
	s_branch .LBB0_322
.LBB0_320:                              ;   in Loop: Header=BB0_195 Depth=1
	.loc	1 44 39 is_stmt 1               ; attention_fwd.py:44:39
	scratch_load_b32 v73, off, off offset:16 ; 4-byte Folded Reload
	s_waitcnt vmcnt(0)
	v_add_nc_u32_e32 v73, s99, v73
	s_delay_alu instid0(VALU_DEP_1) | instskip(NEXT) | instid1(VALU_DEP_1)
	.loc	1 44 21 is_stmt 0               ; attention_fwd.py:44:21
	v_ashrrev_i32_e32 v74, 31, v73
	.loc	1 44 51                         ; attention_fwd.py:44:51
	v_lshlrev_b64 v[73:74], 1, v[73:74]
	s_delay_alu instid0(VALU_DEP_1) | instskip(NEXT) | instid1(VALU_DEP_1)
	v_add_co_u32 v73, vcc_lo, v118, v73
	v_add_co_ci_u32_e64 v74, null, v119, v74, vcc_lo
	.loc	1 45 20 is_stmt 1               ; attention_fwd.py:45:20
	global_load_u16 v148, v[73:74], off
	s_or_b32 exec_lo, exec_lo, s1
	s_and_saveexec_b32 s1, s31
	s_cbranch_execz .LBB0_319
.LBB0_321:                              ;   in Loop: Header=BB0_195 Depth=1
	.loc	1 44 39                         ; attention_fwd.py:44:39
	scratch_load_b32 v73, off, off offset:8 ; 4-byte Folded Reload
	s_waitcnt vmcnt(0)
	v_add_nc_u32_e32 v73, s99, v73
	s_delay_alu instid0(VALU_DEP_1) | instskip(NEXT) | instid1(VALU_DEP_1)
	.loc	1 44 21 is_stmt 0               ; attention_fwd.py:44:21
	v_ashrrev_i32_e32 v74, 31, v73
	.loc	1 44 51                         ; attention_fwd.py:44:51
	v_lshlrev_b64 v[73:74], 1, v[73:74]
	s_delay_alu instid0(VALU_DEP_1) | instskip(NEXT) | instid1(VALU_DEP_1)
	v_add_co_u32 v73, vcc_lo, v118, v73
	v_add_co_ci_u32_e64 v74, null, v119, v74, vcc_lo
	.loc	1 45 20 is_stmt 1               ; attention_fwd.py:45:20
	global_load_u16 v147, v[73:74], off
	s_or_b32 exec_lo, exec_lo, s1
	v_mov_b32_e32 v149, 0
	s_and_saveexec_b32 s1, s33
	s_cbranch_execz .LBB0_194
.LBB0_322:                              ;   in Loop: Header=BB0_195 Depth=1
	.loc	1 44 21                         ; attention_fwd.py:44:21
	scratch_load_b32 v73, off, off          ; 4-byte Folded Reload
	s_waitcnt vmcnt(0)
	v_add_nc_u32_e32 v73, s99, v73
	s_delay_alu instid0(VALU_DEP_1) | instskip(NEXT) | instid1(VALU_DEP_1)
	v_ashrrev_i32_e32 v74, 31, v73
	.loc	1 44 51 is_stmt 0               ; attention_fwd.py:44:51
	v_lshlrev_b64 v[73:74], 1, v[73:74]
	s_delay_alu instid0(VALU_DEP_1) | instskip(NEXT) | instid1(VALU_DEP_1)
	v_add_co_u32 v73, vcc_lo, v118, v73
	v_add_co_ci_u32_e64 v74, null, v119, v74, vcc_lo
	.loc	1 45 20 is_stmt 1               ; attention_fwd.py:45:20
	global_load_u16 v149, v[73:74], off
	s_branch .LBB0_194
.LBB0_323:                              ; %Flow
	.loc	1 0 20 is_stmt 0                ; attention_fwd.py:0:20
	v_readlane_b32 s0, v255, 0
	v_readlane_b32 s1, v255, 1
	v_dual_mov_b32 v125, v225 :: v_dual_mov_b32 v88, v223
	v_dual_mov_b32 v86, v224 :: v_dual_mov_b32 v87, v221
	s_load_b64 s[68:69], s[0:1], 0x18
	v_dual_mov_b32 v124, v222 :: v_dual_mov_b32 v85, v219
	v_dual_mov_b32 v83, v220 :: v_dual_mov_b32 v84, v217
	;; [unrolled: 1-line block ×13, first 2 shown]
	v_mov_b32_e32 v66, v195
	v_mov_b32_e32 v64, v196
	v_readlane_b32 s41, v255, 2
	s_branch .LBB0_325
.LBB0_324:
	v_mov_b32_e32 v31, 0
	v_readlane_b32 s0, v255, 0
	v_mov_b32_e32 v109, 0xff800000
	v_readlane_b32 s1, v255, 1
	s_delay_alu instid0(VALU_DEP_4)
	v_mov_b32_e32 v30, v31
	v_mov_b32_e32 v29, v31
	;; [unrolled: 1-line block ×32, first 2 shown]
.LBB0_325:                              ; %Flow573
	s_load_b64 s[64:65], s[0:1], 0x3c
	s_delay_alu instid0(VALU_DEP_1)
	.loc	1 31 32 is_stmt 1               ; attention_fwd.py:31:32
	s_add_i32 s1, s41, 0x7f
	.loc	1 35 32                         ; attention_fwd.py:35:32
	ds_store_b16 v101, v65 offset:8192
	ds_store_b16 v101, v68 offset:9216
	;; [unrolled: 1-line block ×24, first 2 shown]
	.loc	1 31 32                         ; attention_fwd.py:31:32
	s_ashr_i32 s0, s1, 31
	v_dual_mov_b32 v72, 0 :: v_dual_mov_b32 v73, 0
	s_lshr_b32 s0, s0, 26
	v_dual_mov_b32 v74, 0 :: v_dual_mov_b32 v75, 0
	s_add_i32 s0, s1, s0
	v_dual_mov_b32 v76, 0 :: v_dual_mov_b32 v77, 0
	s_ashr_i32 s0, s0, 6
	v_dual_mov_b32 v78, 0 :: v_dual_mov_b32 v79, 0
	s_max_i32 s8, s0, 1
	v_dual_mov_b32 v80, 0 :: v_dual_mov_b32 v81, 0
	v_dual_mov_b32 v82, 0 :: v_dual_mov_b32 v83, 0
	;; [unrolled: 1-line block ×12, first 2 shown]
	s_cmp_gt_i32 s1, 63
	.loc	1 35 32                         ; attention_fwd.py:35:32
	s_mov_b32 s0, 0
	.loc	1 31 32                         ; attention_fwd.py:31:32
	s_cselect_b32 s66, -1, 0
	s_cmp_lt_i32 s1, 64
	.loc	1 35 32                         ; attention_fwd.py:35:32
	ds_store_b16 v100, v96 offset:8960
	ds_store_b16 v100, v97 offset:9984
	;; [unrolled: 1-line block ×8, first 2 shown]
	s_waitcnt lgkmcnt(0)
	s_waitcnt_vscnt null, 0x0
	s_barrier
	buffer_gl0_inv
	s_cbranch_scc1 .LBB0_327
; %bb.326:
	v_xad_u32 v64, 0x70, v105, 0
	v_xad_u32 v65, 0x50, v105, 0
	;; [unrolled: 1-line block ×3, first 2 shown]
	.loc	1 35 23 is_stmt 0               ; attention_fwd.py:35:23
	s_mov_b32 s1, s0
	s_mov_b32 s2, s0
	.loc	1 35 32                         ; attention_fwd.py:35:32
	ds_load_b128 v[100:103], v64 offset:14336
	ds_load_b128 v[120:123], v64 offset:12288
	;; [unrolled: 1-line block ×4, first 2 shown]
	v_xad_u32 v64, v105, 64, 0
	ds_load_b128 v[144:147], v65 offset:14336
	ds_load_b128 v[152:155], v65 offset:12288
	;; [unrolled: 1-line block ×6, first 2 shown]
	v_xad_u32 v65, v105, 32, 0
	ds_load_b128 v[176:179], v66 offset:14336
	ds_load_b128 v[184:187], v66 offset:12288
	;; [unrolled: 1-line block ×4, first 2 shown]
	v_xad_u32 v66, v105, 16, 0
	.loc	1 35 23                         ; attention_fwd.py:35:23
	s_mov_b32 s3, s0
	s_mov_b32 s4, s0
	;; [unrolled: 1-line block ×5, first 2 shown]
	.loc	1 35 32                         ; attention_fwd.py:35:32
	v_add_nc_u32_e32 v67, 0, v105
	ds_load_b128 v[188:191], v65 offset:10240
	ds_load_b128 v[196:199], v65 offset:8192
	;; [unrolled: 1-line block ×12, first 2 shown]
	v_xad_u32 v72, 0x60, v105, 0
	ds_load_b128 v[140:143], v64 offset:14336
	ds_load_b128 v[148:151], v64 offset:12288
	.loc	1 35 23                         ; attention_fwd.py:35:23
	v_dual_mov_b32 v71, s7 :: v_dual_mov_b32 v68, s4
	v_dual_mov_b32 v70, s6 :: v_dual_mov_b32 v69, s5
	;; [unrolled: 1-line block ×4, first 2 shown]
	.loc	1 35 32                         ; attention_fwd.py:35:32
	ds_load_b128 v[124:127], v72 offset:10240
	ds_load_b128 v[132:135], v72 offset:8192
	;; [unrolled: 1-line block ×4, first 2 shown]
	.loc	1 35 23                         ; attention_fwd.py:35:23
	s_waitcnt lgkmcnt(12)
	v_wmma_f32_16x16x16_bf16 v[72:79], v[80:87], v[48:55], v[64:71]
	v_wmma_f32_16x16x16_bf16 v[80:87], v[88:95], v[48:55], v[64:71]
	s_waitcnt lgkmcnt(8)
	v_wmma_f32_16x16x16_bf16 v[88:95], v[212:219], v[48:55], v[64:71]
	v_wmma_f32_16x16x16_bf16 v[64:71], v[204:211], v[48:55], v[64:71]
	v_wmma_f32_16x16x16_bf16 v[72:79], v[196:203], v[56:63], v[72:79]
	v_wmma_f32_16x16x16_bf16 v[80:87], v[188:195], v[56:63], v[80:87]
	s_waitcnt lgkmcnt(6)
	v_wmma_f32_16x16x16_bf16 v[88:95], v[180:187], v[56:63], v[88:95]
	v_wmma_f32_16x16x16_bf16 v[64:71], v[172:179], v[56:63], v[64:71]
	;; [unrolled: 5-line block ×3, first 2 shown]
	s_waitcnt lgkmcnt(2)
	v_wmma_f32_16x16x16_bf16 v[72:79], v[132:139], v[32:39], v[72:79]
	v_wmma_f32_16x16x16_bf16 v[80:87], v[124:131], v[32:39], v[80:87]
	s_waitcnt lgkmcnt(0)
	v_wmma_f32_16x16x16_bf16 v[88:95], v[116:123], v[32:39], v[88:95]
	v_wmma_f32_16x16x16_bf16 v[64:71], v[96:103], v[32:39], v[64:71]
.LBB0_327:
	.loc	1 17 46 is_stmt 1               ; attention_fwd.py:17:46
	v_or_b32_e32 v116, 2, v112
	.loc	1 31 32                         ; attention_fwd.py:31:32
	s_lshl_b32 s0, s8, 6
	.loc	1 17 46                         ; attention_fwd.py:17:46
	v_or_b32_e32 v117, 4, v112
	.loc	1 31 32                         ; attention_fwd.py:31:32
	s_sub_i32 s0, s0, 64
	.loc	1 17 46                         ; attention_fwd.py:17:46
	v_or_b32_e32 v118, 6, v112
	v_or_b32_e32 v119, 8, v112
	;; [unrolled: 1-line block ×28, first 2 shown]
	.loc	1 32 27                         ; attention_fwd.py:32:27
	v_or_b32_e32 v32, s0, v112
	v_or_b32_e32 v33, s0, v116
	;; [unrolled: 1-line block ×32, first 2 shown]
	.loc	1 36 40                         ; attention_fwd.py:36:40
	v_cmp_le_i32_e32 vcc_lo, s100, v32
	v_cmp_le_i32_e64 s0, s100, v33
	.loc	1 38 45                         ; attention_fwd.py:38:45
	v_cmp_lt_i32_e64 s31, v114, v32
	v_cmp_lt_i32_e64 s33, v114, v33
	.loc	1 35 38                         ; attention_fwd.py:35:38
	v_dual_mul_f32 v72, s102, v72 :: v_dual_mul_f32 v73, s102, v73
	.loc	1 36 40                         ; attention_fwd.py:36:40
	v_cmp_le_i32_e64 s1, s100, v34
	.loc	1 38 45                         ; attention_fwd.py:38:45
	v_cmp_lt_i32_e64 s34, v114, v34
	.loc	1 35 38                         ; attention_fwd.py:35:38
	v_dual_mul_f32 v74, s102, v74 :: v_dual_mul_f32 v75, s102, v75
	.loc	1 36 40                         ; attention_fwd.py:36:40
	v_cmp_le_i32_e64 s2, s100, v35
	.loc	1 38 45                         ; attention_fwd.py:38:45
	v_cmp_lt_i32_e64 s35, v114, v35
	.loc	1 38 66 is_stmt 0               ; attention_fwd.py:38:66
	s_or_b32 s31, s31, vcc_lo
	s_or_b32 s0, s33, s0
	v_cndmask_b32_e64 v32, v72, 0xff800000, s31
	v_cndmask_b32_e64 v34, v73, 0xff800000, s0
	.loc	1 36 40 is_stmt 1               ; attention_fwd.py:36:40
	v_cmp_le_i32_e64 s3, s100, v36
	.loc	1 38 45                         ; attention_fwd.py:38:45
	v_cmp_lt_i32_e64 s36, v114, v36
	.loc	1 38 66 is_stmt 0               ; attention_fwd.py:38:66
	s_or_b32 s0, s34, s1
	.loc	1 35 38 is_stmt 1               ; attention_fwd.py:35:38
	v_dual_mul_f32 v76, s102, v76 :: v_dual_mul_f32 v77, s102, v77
	.loc	1 36 40                         ; attention_fwd.py:36:40
	v_cmp_le_i32_e64 s4, s100, v37
	.loc	1 38 45                         ; attention_fwd.py:38:45
	v_cmp_lt_i32_e64 s37, v114, v37
	.loc	1 38 66 is_stmt 0               ; attention_fwd.py:38:66
	v_cndmask_b32_e64 v35, v74, 0xff800000, s0
	s_or_b32 s0, s35, s2
.Ltmp21:
	.loc	2 170 27 is_stmt 1              ; standard.py:170:27 @[ standard.py:191:40 @[ attention_fwd.py:39:42 ] ]
	v_max_f32_e32 v33, v32, v34
.Ltmp22:
	.loc	1 38 66                         ; attention_fwd.py:38:66
	v_cndmask_b32_e64 v36, v75, 0xff800000, s0
	.loc	1 36 40                         ; attention_fwd.py:36:40
	v_cmp_le_i32_e64 s5, s100, v38
	.loc	1 38 45                         ; attention_fwd.py:38:45
	v_cmp_lt_i32_e64 s38, v114, v38
	.loc	1 38 66 is_stmt 0               ; attention_fwd.py:38:66
	s_or_b32 s0, s36, s3
	.loc	1 35 38 is_stmt 1               ; attention_fwd.py:35:38
	v_dual_mul_f32 v78, s102, v78 :: v_dual_mul_f32 v79, s102, v79
	.loc	1 36 40                         ; attention_fwd.py:36:40
	v_cmp_le_i32_e64 s6, s100, v39
	.loc	1 38 45                         ; attention_fwd.py:38:45
	v_cmp_lt_i32_e64 s39, v114, v39
	.loc	1 38 66 is_stmt 0               ; attention_fwd.py:38:66
	v_cndmask_b32_e64 v37, v76, 0xff800000, s0
	s_or_b32 s0, s37, s4
.Ltmp23:
	.loc	2 170 27 is_stmt 1              ; standard.py:170:27 @[ standard.py:191:40 @[ attention_fwd.py:39:42 ] ]
	v_max3_f32 v33, v33, v35, v36
.Ltmp24:
	.loc	1 38 66                         ; attention_fwd.py:38:66
	v_cndmask_b32_e64 v38, v77, 0xff800000, s0
	.loc	1 36 40                         ; attention_fwd.py:36:40
	v_cmp_le_i32_e64 s7, s100, v40
	.loc	1 38 45                         ; attention_fwd.py:38:45
	v_cmp_lt_i32_e64 s40, v114, v40
	.loc	1 38 66 is_stmt 0               ; attention_fwd.py:38:66
	s_or_b32 s0, s38, s5
	.loc	1 35 38 is_stmt 1               ; attention_fwd.py:35:38
	v_dual_mul_f32 v80, s102, v80 :: v_dual_mul_f32 v81, s102, v81
	.loc	1 36 40                         ; attention_fwd.py:36:40
	v_cmp_le_i32_e64 s8, s100, v41
	.loc	1 38 45                         ; attention_fwd.py:38:45
	v_cmp_lt_i32_e64 s41, v114, v41
	.loc	1 38 66 is_stmt 0               ; attention_fwd.py:38:66
	v_cndmask_b32_e64 v39, v78, 0xff800000, s0
	s_or_b32 s0, s39, s6
.Ltmp25:
	.loc	2 170 27 is_stmt 1              ; standard.py:170:27 @[ standard.py:191:40 @[ attention_fwd.py:39:42 ] ]
	v_max3_f32 v33, v33, v37, v38
.Ltmp26:
	.loc	1 38 66                         ; attention_fwd.py:38:66
	v_cndmask_b32_e64 v40, v79, 0xff800000, s0
	.loc	1 36 40                         ; attention_fwd.py:36:40
	v_cmp_le_i32_e64 s9, s100, v42
	.loc	1 38 45                         ; attention_fwd.py:38:45
	v_cmp_lt_i32_e64 s42, v114, v42
	.loc	1 38 66 is_stmt 0               ; attention_fwd.py:38:66
	s_or_b32 s0, s40, s7
	.loc	1 35 38 is_stmt 1               ; attention_fwd.py:35:38
	v_dual_mul_f32 v82, s102, v82 :: v_dual_mul_f32 v83, s102, v83
	.loc	1 36 40                         ; attention_fwd.py:36:40
	v_cmp_le_i32_e64 s10, s100, v43
	.loc	1 38 45                         ; attention_fwd.py:38:45
	v_cmp_lt_i32_e64 s43, v114, v43
	.loc	1 38 66 is_stmt 0               ; attention_fwd.py:38:66
	v_cndmask_b32_e64 v41, v80, 0xff800000, s0
	s_or_b32 s0, s41, s8
.Ltmp27:
	.loc	2 170 27 is_stmt 1              ; standard.py:170:27 @[ standard.py:191:40 @[ attention_fwd.py:39:42 ] ]
	v_max3_f32 v33, v33, v39, v40
.Ltmp28:
	.loc	1 38 66                         ; attention_fwd.py:38:66
	v_cndmask_b32_e64 v42, v81, 0xff800000, s0
	.loc	1 36 40                         ; attention_fwd.py:36:40
	v_cmp_le_i32_e64 s11, s100, v44
	.loc	1 38 45                         ; attention_fwd.py:38:45
	v_cmp_lt_i32_e64 s44, v114, v44
	.loc	1 38 66 is_stmt 0               ; attention_fwd.py:38:66
	s_or_b32 s0, s42, s9
	.loc	1 35 38 is_stmt 1               ; attention_fwd.py:35:38
	v_dual_mul_f32 v84, s102, v84 :: v_dual_mul_f32 v85, s102, v85
	.loc	1 36 40                         ; attention_fwd.py:36:40
	v_cmp_le_i32_e64 s12, s100, v45
	.loc	1 38 45                         ; attention_fwd.py:38:45
	v_cmp_lt_i32_e64 s45, v114, v45
	.loc	1 38 66 is_stmt 0               ; attention_fwd.py:38:66
	v_cndmask_b32_e64 v43, v82, 0xff800000, s0
	s_or_b32 s0, s43, s10
.Ltmp29:
	.loc	2 170 27 is_stmt 1              ; standard.py:170:27 @[ standard.py:191:40 @[ attention_fwd.py:39:42 ] ]
	v_max3_f32 v33, v33, v41, v42
.Ltmp30:
	.loc	1 38 66                         ; attention_fwd.py:38:66
	v_cndmask_b32_e64 v44, v83, 0xff800000, s0
	.loc	1 36 40                         ; attention_fwd.py:36:40
	v_cmp_le_i32_e64 s13, s100, v46
	.loc	1 38 45                         ; attention_fwd.py:38:45
	v_cmp_lt_i32_e64 s46, v114, v46
	.loc	1 38 66 is_stmt 0               ; attention_fwd.py:38:66
	s_or_b32 s0, s44, s11
	.loc	1 35 38 is_stmt 1               ; attention_fwd.py:35:38
	v_dual_mul_f32 v86, s102, v86 :: v_dual_mul_f32 v87, s102, v87
	.loc	1 36 40                         ; attention_fwd.py:36:40
	v_cmp_le_i32_e64 s14, s100, v47
	.loc	1 38 45                         ; attention_fwd.py:38:45
	v_cmp_lt_i32_e64 s47, v114, v47
	.loc	1 38 66 is_stmt 0               ; attention_fwd.py:38:66
	v_cndmask_b32_e64 v45, v84, 0xff800000, s0
	s_or_b32 s0, s45, s12
.Ltmp31:
	.loc	2 170 27 is_stmt 1              ; standard.py:170:27 @[ standard.py:191:40 @[ attention_fwd.py:39:42 ] ]
	v_max3_f32 v33, v33, v43, v44
.Ltmp32:
	.loc	1 38 66                         ; attention_fwd.py:38:66
	v_cndmask_b32_e64 v46, v85, 0xff800000, s0
	.loc	1 36 40                         ; attention_fwd.py:36:40
	v_cmp_le_i32_e64 s15, s100, v48
	.loc	1 38 45                         ; attention_fwd.py:38:45
	v_cmp_lt_i32_e64 s48, v114, v48
	.loc	1 38 66 is_stmt 0               ; attention_fwd.py:38:66
	s_or_b32 s0, s46, s13
	.loc	1 35 38 is_stmt 1               ; attention_fwd.py:35:38
	v_dual_mul_f32 v88, s102, v88 :: v_dual_mul_f32 v89, s102, v89
	.loc	1 36 40                         ; attention_fwd.py:36:40
	v_cmp_le_i32_e64 s16, s100, v49
	.loc	1 38 45                         ; attention_fwd.py:38:45
	v_cmp_lt_i32_e64 s49, v114, v49
	.loc	1 38 66 is_stmt 0               ; attention_fwd.py:38:66
	v_cndmask_b32_e64 v47, v86, 0xff800000, s0
	s_or_b32 s0, s47, s14
.Ltmp33:
	.loc	2 170 27 is_stmt 1              ; standard.py:170:27 @[ standard.py:191:40 @[ attention_fwd.py:39:42 ] ]
	v_max3_f32 v33, v33, v45, v46
.Ltmp34:
	.loc	1 38 66                         ; attention_fwd.py:38:66
	v_cndmask_b32_e64 v48, v87, 0xff800000, s0
	.loc	1 36 40                         ; attention_fwd.py:36:40
	v_cmp_le_i32_e64 s17, s100, v50
	.loc	1 38 45                         ; attention_fwd.py:38:45
	v_cmp_lt_i32_e64 s50, v114, v50
	.loc	1 38 66 is_stmt 0               ; attention_fwd.py:38:66
	s_or_b32 s0, s48, s15
	.loc	1 35 38 is_stmt 1               ; attention_fwd.py:35:38
	v_dual_mul_f32 v90, s102, v90 :: v_dual_mul_f32 v91, s102, v91
	.loc	1 36 40                         ; attention_fwd.py:36:40
	v_cmp_le_i32_e64 s18, s100, v51
	.loc	1 38 45                         ; attention_fwd.py:38:45
	v_cmp_lt_i32_e64 s51, v114, v51
	.loc	1 38 66 is_stmt 0               ; attention_fwd.py:38:66
	v_cndmask_b32_e64 v49, v88, 0xff800000, s0
	s_or_b32 s0, s49, s16
.Ltmp35:
	.loc	2 170 27 is_stmt 1              ; standard.py:170:27 @[ standard.py:191:40 @[ attention_fwd.py:39:42 ] ]
	v_max3_f32 v33, v33, v47, v48
.Ltmp36:
	.loc	1 38 66                         ; attention_fwd.py:38:66
	v_cndmask_b32_e64 v50, v89, 0xff800000, s0
	.loc	1 36 40                         ; attention_fwd.py:36:40
	v_cmp_le_i32_e64 s19, s100, v52
	.loc	1 38 45                         ; attention_fwd.py:38:45
	v_cmp_lt_i32_e64 s52, v114, v52
	.loc	1 38 66 is_stmt 0               ; attention_fwd.py:38:66
	s_or_b32 s0, s50, s17
	.loc	1 35 38 is_stmt 1               ; attention_fwd.py:35:38
	v_dual_mul_f32 v92, s102, v92 :: v_dual_mul_f32 v93, s102, v93
	.loc	1 36 40                         ; attention_fwd.py:36:40
	v_cmp_le_i32_e64 s20, s100, v53
	.loc	1 38 45                         ; attention_fwd.py:38:45
	v_cmp_lt_i32_e64 s53, v114, v53
	.loc	1 38 66 is_stmt 0               ; attention_fwd.py:38:66
	v_cndmask_b32_e64 v51, v90, 0xff800000, s0
	s_or_b32 s0, s51, s18
.Ltmp37:
	.loc	2 170 27 is_stmt 1              ; standard.py:170:27 @[ standard.py:191:40 @[ attention_fwd.py:39:42 ] ]
	v_max3_f32 v33, v33, v49, v50
.Ltmp38:
	.loc	1 38 66                         ; attention_fwd.py:38:66
	v_cndmask_b32_e64 v52, v91, 0xff800000, s0
	.loc	1 36 40                         ; attention_fwd.py:36:40
	v_cmp_le_i32_e64 s21, s100, v54
	.loc	1 38 45                         ; attention_fwd.py:38:45
	v_cmp_lt_i32_e64 s54, v114, v54
	.loc	1 38 66 is_stmt 0               ; attention_fwd.py:38:66
	s_or_b32 s0, s52, s19
	.loc	1 35 38 is_stmt 1               ; attention_fwd.py:35:38
	v_dual_mul_f32 v94, s102, v94 :: v_dual_mul_f32 v95, s102, v95
	.loc	1 36 40                         ; attention_fwd.py:36:40
	v_cmp_le_i32_e64 s22, s100, v55
	.loc	1 38 45                         ; attention_fwd.py:38:45
	v_cmp_lt_i32_e64 s55, v114, v55
	.loc	1 38 66 is_stmt 0               ; attention_fwd.py:38:66
	v_cndmask_b32_e64 v53, v92, 0xff800000, s0
	s_or_b32 s0, s53, s20
.Ltmp39:
	.loc	2 170 27 is_stmt 1              ; standard.py:170:27 @[ standard.py:191:40 @[ attention_fwd.py:39:42 ] ]
	v_max3_f32 v33, v33, v51, v52
.Ltmp40:
	.loc	1 38 66                         ; attention_fwd.py:38:66
	v_cndmask_b32_e64 v54, v93, 0xff800000, s0
	.loc	1 36 40                         ; attention_fwd.py:36:40
	v_cmp_le_i32_e64 s23, s100, v56
	.loc	1 38 45                         ; attention_fwd.py:38:45
	v_cmp_lt_i32_e64 s56, v114, v56
	.loc	1 38 66 is_stmt 0               ; attention_fwd.py:38:66
	s_or_b32 s0, s54, s21
	.loc	1 35 38 is_stmt 1               ; attention_fwd.py:35:38
	v_dual_mul_f32 v64, s102, v64 :: v_dual_mul_f32 v65, s102, v65
	.loc	1 36 40                         ; attention_fwd.py:36:40
	v_cmp_le_i32_e64 s24, s100, v57
	.loc	1 38 45                         ; attention_fwd.py:38:45
	v_cmp_lt_i32_e64 s57, v114, v57
	.loc	1 38 66 is_stmt 0               ; attention_fwd.py:38:66
	v_cndmask_b32_e64 v55, v94, 0xff800000, s0
	s_or_b32 s0, s55, s22
.Ltmp41:
	.loc	2 170 27 is_stmt 1              ; standard.py:170:27 @[ standard.py:191:40 @[ attention_fwd.py:39:42 ] ]
	v_max3_f32 v33, v33, v53, v54
.Ltmp42:
	.loc	1 38 66                         ; attention_fwd.py:38:66
	v_cndmask_b32_e64 v56, v95, 0xff800000, s0
	.loc	1 36 40                         ; attention_fwd.py:36:40
	v_cmp_le_i32_e64 s25, s100, v58
	.loc	1 38 45                         ; attention_fwd.py:38:45
	v_cmp_lt_i32_e64 s58, v114, v58
	.loc	1 38 66 is_stmt 0               ; attention_fwd.py:38:66
	s_or_b32 s0, s56, s23
	.loc	1 35 38 is_stmt 1               ; attention_fwd.py:35:38
	v_dual_mul_f32 v66, s102, v66 :: v_dual_mul_f32 v67, s102, v67
	.loc	1 36 40                         ; attention_fwd.py:36:40
	v_cmp_le_i32_e64 s26, s100, v59
	.loc	1 38 45                         ; attention_fwd.py:38:45
	v_cmp_lt_i32_e64 s59, v114, v59
	.loc	1 38 66 is_stmt 0               ; attention_fwd.py:38:66
	v_cndmask_b32_e64 v57, v64, 0xff800000, s0
	s_or_b32 s0, s57, s24
.Ltmp43:
	.loc	2 170 27 is_stmt 1              ; standard.py:170:27 @[ standard.py:191:40 @[ attention_fwd.py:39:42 ] ]
	v_max3_f32 v33, v33, v55, v56
.Ltmp44:
	.loc	1 38 66                         ; attention_fwd.py:38:66
	v_cndmask_b32_e64 v58, v65, 0xff800000, s0
	.loc	1 36 40                         ; attention_fwd.py:36:40
	v_cmp_le_i32_e64 s27, s100, v60
	.loc	1 38 45                         ; attention_fwd.py:38:45
	v_cmp_lt_i32_e64 s60, v114, v60
	.loc	1 38 66 is_stmt 0               ; attention_fwd.py:38:66
	s_or_b32 s0, s58, s25
	.loc	1 35 38 is_stmt 1               ; attention_fwd.py:35:38
	v_dual_mul_f32 v68, s102, v68 :: v_dual_mul_f32 v69, s102, v69
	.loc	1 36 40                         ; attention_fwd.py:36:40
	v_cmp_le_i32_e64 s28, s100, v61
	.loc	1 38 45                         ; attention_fwd.py:38:45
	v_cmp_lt_i32_e64 s61, v114, v61
	.loc	1 38 66 is_stmt 0               ; attention_fwd.py:38:66
	v_cndmask_b32_e64 v59, v66, 0xff800000, s0
	s_or_b32 s0, s59, s26
.Ltmp45:
	.loc	2 170 27 is_stmt 1              ; standard.py:170:27 @[ standard.py:191:40 @[ attention_fwd.py:39:42 ] ]
	v_max3_f32 v33, v33, v57, v58
.Ltmp46:
	.loc	1 38 66                         ; attention_fwd.py:38:66
	v_cndmask_b32_e64 v60, v67, 0xff800000, s0
	.loc	1 36 40                         ; attention_fwd.py:36:40
	v_cmp_le_i32_e64 s29, s100, v62
	.loc	1 38 45                         ; attention_fwd.py:38:45
	v_cmp_lt_i32_e64 s62, v114, v62
	.loc	1 38 66 is_stmt 0               ; attention_fwd.py:38:66
	s_or_b32 s0, s60, s27
	.loc	1 35 38 is_stmt 1               ; attention_fwd.py:35:38
	v_dual_mul_f32 v70, s102, v70 :: v_dual_mul_f32 v71, s102, v71
	.loc	1 36 40                         ; attention_fwd.py:36:40
	v_cmp_le_i32_e64 s30, s100, v63
	.loc	1 38 45                         ; attention_fwd.py:38:45
	v_cmp_lt_i32_e64 s63, v114, v63
	.loc	1 38 66 is_stmt 0               ; attention_fwd.py:38:66
	v_cndmask_b32_e64 v61, v68, 0xff800000, s0
	s_or_b32 s0, s61, s28
.Ltmp47:
	.loc	2 170 27 is_stmt 1              ; standard.py:170:27 @[ standard.py:191:40 @[ attention_fwd.py:39:42 ] ]
	v_max3_f32 v33, v33, v59, v60
.Ltmp48:
	.loc	1 38 66                         ; attention_fwd.py:38:66
	v_cndmask_b32_e64 v62, v69, 0xff800000, s0
	s_or_b32 s0, s62, s29
	s_mov_b32 s3, 0x76543210
	v_cndmask_b32_e64 v63, v70, 0xff800000, s0
	s_or_b32 s0, s63, s30
.Ltmp49:
	.loc	2 170 27                        ; standard.py:170:27 @[ standard.py:191:40 @[ attention_fwd.py:39:42 ] ]
	v_max3_f32 v33, v33, v61, v62
.Ltmp50:
	.loc	1 38 66                         ; attention_fwd.py:38:66
	v_cndmask_b32_e64 v64, v71, 0xff800000, s0
	s_delay_alu instid0(VALU_DEP_1) | instskip(NEXT) | instid1(VALU_DEP_1)
.Ltmp51:
	.loc	2 170 27                        ; standard.py:170:27 @[ standard.py:191:40 @[ attention_fwd.py:39:42 ] ]
	v_max3_f32 v33, v33, v63, v64
.Ltmp52:
	.loc	2 191 40                        ; standard.py:191:40 @[ attention_fwd.py:39:42 ]
	v_permlanex16_b32 v65, v33, s3, 0xfedcba98 op_sel:[1,0]
	s_delay_alu instid0(VALU_DEP_1) | instskip(NEXT) | instid1(VALU_DEP_1)
.Ltmp53:
	.loc	1 39 31                         ; attention_fwd.py:39:31
	v_max3_f32 v33, v109, v33, v65
	.loc	1 40 24                         ; attention_fwd.py:40:24
	v_sub_f32_e32 v36, v36, v33
	v_sub_f32_e32 v32, v32, v33
	;; [unrolled: 1-line block ×4, first 2 shown]
	s_delay_alu instid0(VALU_DEP_4) | instskip(NEXT) | instid1(VALU_DEP_4)
	v_dual_sub_f32 v54, v54, v33 :: v_dual_mul_f32 v67, 0x3fb8aa3b, v36
	v_dual_sub_f32 v34, v34, v33 :: v_dual_mul_f32 v65, 0x3fb8aa3b, v32
	v_sub_f32_e32 v35, v35, v33
	v_sub_f32_e32 v50, v50, v33
	s_delay_alu instid0(VALU_DEP_4)
	.loc	1 40 19 is_stmt 0               ; attention_fwd.py:40:19
	v_cmp_gt_f32_e64 s1, 0xc2fc0000, v67
	.loc	1 40 24                         ; attention_fwd.py:40:24
	v_sub_f32_e32 v48, v48, v33
	.loc	1 40 19                         ; attention_fwd.py:40:19
	v_cmp_gt_f32_e32 vcc_lo, 0xc2fc0000, v65
	.loc	1 40 24                         ; attention_fwd.py:40:24
	v_sub_f32_e32 v42, v42, v33
	v_sub_f32_e32 v40, v40, v33
	;; [unrolled: 1-line block ×4, first 2 shown]
	.loc	1 40 19                         ; attention_fwd.py:40:19
	v_cndmask_b32_e64 v65, 0, 0x42800000, vcc_lo
	v_cndmask_b32_e64 v68, 0, 0xffffffc0, vcc_lo
	s_delay_alu instid0(VALU_DEP_2) | instskip(SKIP_2) | instid1(VALU_DEP_3)
	.loc	1 40 24                         ; attention_fwd.py:40:24
	v_dual_sub_f32 v46, v46, v33 :: v_dual_fmac_f32 v65, 0x3fb8aa3b, v32
	.loc	1 40 19                         ; attention_fwd.py:40:19
	v_mul_f32_e32 v32, 0x3fb8aa3b, v34
	v_mul_f32_e32 v66, 0x3fb8aa3b, v35
	v_exp_f32_e32 v65, v65
	s_delay_alu instid0(VALU_DEP_2) | instskip(NEXT) | instid1(VALU_DEP_2)
	v_cmp_gt_f32_e64 s0, 0xc2fc0000, v32
	v_cmp_gt_f32_e32 vcc_lo, 0xc2fc0000, v66
	v_cndmask_b32_e64 v66, 0, 0x42800000, s1
	.loc	1 40 24                         ; attention_fwd.py:40:24
	v_sub_f32_e32 v41, v41, v33
	s_delay_alu instid0(VALU_DEP_4) | instskip(NEXT) | instid1(VALU_DEP_3)
	.loc	1 40 19                         ; attention_fwd.py:40:19
	v_cndmask_b32_e64 v32, 0, 0x42800000, s0
	.loc	1 40 24                         ; attention_fwd.py:40:24
	v_dual_sub_f32 v37, v37, v33 :: v_dual_fmac_f32 v66, 0x3fb8aa3b, v36
	s_delay_alu instid0(TRANS32_DEP_1) | instskip(NEXT) | instid1(VALU_DEP_2)
	.loc	1 40 19                         ; attention_fwd.py:40:19
	v_ldexp_f32 v65, v65, v68
	v_dual_fmac_f32 v32, 0x3fb8aa3b, v34 :: v_dual_mul_f32 v67, 0x3fb8aa3b, v37
	s_delay_alu instid0(VALU_DEP_3) | instskip(SKIP_2) | instid1(VALU_DEP_3)
	v_exp_f32_e32 v66, v66
	v_cndmask_b32_e64 v34, 0, 0x42800000, vcc_lo
	.loc	1 40 24                         ; attention_fwd.py:40:24
	v_sub_f32_e32 v39, v39, v33
	.loc	1 40 19                         ; attention_fwd.py:40:19
	v_exp_f32_e32 v32, v32
	v_cmp_gt_f32_e64 s2, 0xc2fc0000, v67
	v_cndmask_b32_e64 v67, 0, 0xffffffc0, s0
	v_dual_fmac_f32 v34, 0x3fb8aa3b, v35 :: v_dual_sub_f32 v47, v47, v33
	s_delay_alu instid0(VALU_DEP_3) | instskip(NEXT) | instid1(VALU_DEP_2)
	v_cndmask_b32_e64 v35, 0, 0x42800000, s2
	v_exp_f32_e32 v34, v34
	s_waitcnt_depctr depctr_va_vdst(0)
	v_ldexp_f32 v32, v32, v67
	v_cndmask_b32_e64 v67, 0, 0xffffffc0, s1
	s_delay_alu instid0(VALU_DEP_1) | instskip(SKIP_3) | instid1(VALU_DEP_2)
	v_ldexp_f32 v66, v66, v67
	v_mul_f32_e32 v67, 0x3fb8aa3b, v40
	.loc	1 40 24                         ; attention_fwd.py:40:24
	v_dual_sub_f32 v43, v43, v33 :: v_dual_mul_f32 v36, 0x3fb8aa3b, v38
	v_sub_f32_e32 v51, v51, v33
	.loc	1 40 19                         ; attention_fwd.py:40:19
	v_cmp_gt_f32_e64 s0, 0xc2fc0000, v36
	s_delay_alu instid0(VALU_DEP_1) | instskip(NEXT) | instid1(VALU_DEP_1)
	v_cndmask_b32_e64 v36, 0, 0x42800000, s0
	.loc	1 40 24                         ; attention_fwd.py:40:24
	v_dual_sub_f32 v45, v45, v33 :: v_dual_fmac_f32 v36, 0x3fb8aa3b, v38
	.loc	1 40 19                         ; attention_fwd.py:40:19
	v_dual_mul_f32 v38, 0x3fb8aa3b, v39 :: v_dual_fmac_f32 v35, 0x3fb8aa3b, v37
	v_cndmask_b32_e64 v37, 0, 0xffffffc0, vcc_lo
	.loc	1 40 24                         ; attention_fwd.py:40:24
	v_sub_f32_e32 v61, v61, v33
	s_delay_alu instid0(VALU_DEP_4) | instskip(NEXT) | instid1(VALU_DEP_3)
	.loc	1 40 19                         ; attention_fwd.py:40:19
	v_exp_f32_e32 v36, v36
	v_cmp_gt_f32_e32 vcc_lo, 0xc2fc0000, v38
	v_exp_f32_e32 v35, v35
	v_ldexp_f32 v37, v34, v37
	v_cndmask_b32_e64 v34, 0, 0xffffffc0, s2
	v_cndmask_b32_e64 v38, 0, 0x42800000, vcc_lo
	s_delay_alu instid0(VALU_DEP_1)
	.loc	1 40 24                         ; attention_fwd.py:40:24
	v_dual_sub_f32 v49, v49, v33 :: v_dual_fmac_f32 v38, 0x3fb8aa3b, v39
	.loc	1 40 19                         ; attention_fwd.py:40:19
	s_waitcnt_depctr depctr_va_vdst(0)
	v_ldexp_f32 v68, v35, v34
	v_mul_f32_e32 v34, 0x3fb8aa3b, v41
	v_cndmask_b32_e64 v35, 0, 0xffffffc0, s0
	v_cmp_gt_f32_e64 s0, 0xc2fc0000, v67
	v_mul_f32_e32 v67, 0x3fb8aa3b, v42
	s_delay_alu instid0(VALU_DEP_4) | instskip(NEXT) | instid1(VALU_DEP_4)
	v_cmp_gt_f32_e64 s1, 0xc2fc0000, v34
	v_ldexp_f32 v36, v36, v35
	s_delay_alu instid0(VALU_DEP_4) | instskip(NEXT) | instid1(VALU_DEP_4)
	v_cndmask_b32_e64 v39, 0, 0x42800000, s0
	v_cmp_gt_f32_e64 s2, 0xc2fc0000, v67
	v_exp_f32_e32 v35, v38
	v_cndmask_b32_e64 v34, 0, 0x42800000, s1
	s_delay_alu instid0(VALU_DEP_3) | instskip(NEXT) | instid1(VALU_DEP_3)
	v_dual_fmac_f32 v39, 0x3fb8aa3b, v40 :: v_dual_mul_f32 v40, 0x3fb8aa3b, v43
	v_cndmask_b32_e64 v38, 0, 0x42800000, s2
	s_delay_alu instid0(VALU_DEP_3)
	v_fmac_f32_e32 v34, 0x3fb8aa3b, v41
	v_cndmask_b32_e64 v41, 0, 0xffffffc0, vcc_lo
	.loc	1 40 24                         ; attention_fwd.py:40:24
	v_sub_f32_e32 v53, v53, v33
	.loc	1 40 19                         ; attention_fwd.py:40:19
	v_cmp_gt_f32_e32 vcc_lo, 0xc2fc0000, v40
	v_fmac_f32_e32 v38, 0x3fb8aa3b, v42
	v_exp_f32_e32 v34, v34
	v_exp_f32_e32 v39, v39
	v_cndmask_b32_e64 v42, 0, 0xffffffc0, s1
	v_cndmask_b32_e64 v40, 0, 0x42800000, vcc_lo
	.loc	1 40 24                         ; attention_fwd.py:40:24
	v_sub_f32_e32 v55, v55, v33
	.loc	1 40 19                         ; attention_fwd.py:40:19
	v_exp_f32_e32 v38, v38
	v_ldexp_f32 v41, v35, v41
	v_cndmask_b32_e64 v35, 0, 0xffffffc0, s0
	v_dual_fmac_f32 v40, 0x3fb8aa3b, v43 :: v_dual_mul_f32 v43, 0x3fb8aa3b, v44
	s_delay_alu instid0(TRANS32_DEP_3)
	v_ldexp_f32 v42, v34, v42
	v_cndmask_b32_e64 v34, 0, 0xffffffc0, s2
	.loc	1 40 24                         ; attention_fwd.py:40:24
	v_sub_f32_e32 v57, v57, v33
	.loc	1 40 19                         ; attention_fwd.py:40:19
	v_ldexp_f32 v39, v39, v35
	v_cmp_gt_f32_e64 s0, 0xc2fc0000, v43
	v_exp_f32_e32 v35, v40
	v_ldexp_f32 v38, v38, v34
	v_mul_f32_e32 v34, 0x3fb8aa3b, v46
	v_cndmask_b32_e64 v67, 0, 0xffffffc0, vcc_lo
	v_cndmask_b32_e64 v40, 0, 0x42800000, s0
	.loc	1 40 24                         ; attention_fwd.py:40:24
	v_sub_f32_e32 v59, v59, v33
	.loc	1 40 19                         ; attention_fwd.py:40:19
	v_mul_f32_e32 v43, 0x3fb8aa3b, v45
	v_cmp_gt_f32_e64 s1, 0xc2fc0000, v34
	.loc	1 40 24                         ; attention_fwd.py:40:24
	v_sub_f32_e32 v52, v52, v33
	.loc	1 40 19                         ; attention_fwd.py:40:19
	v_fmac_f32_e32 v40, 0x3fb8aa3b, v44
	v_mul_f32_e32 v44, 0x3fb8aa3b, v47
	v_ldexp_f32 v67, v35, v67
	v_cndmask_b32_e64 v34, 0, 0x42800000, s1
	.loc	1 40 24                         ; attention_fwd.py:40:24
	v_sub_f32_e32 v63, v63, v33
	.loc	1 40 19                         ; attention_fwd.py:40:19
	v_exp_f32_e32 v35, v40
	v_cmp_gt_f32_e64 s2, 0xc2fc0000, v44
	v_cmp_gt_f32_e32 vcc_lo, 0xc2fc0000, v43
	v_fmac_f32_e32 v34, 0x3fb8aa3b, v46
	v_cndmask_b32_e64 v46, 0, 0xffffffc0, s1
	v_mul_f32_e32 v44, 0x3fb8aa3b, v48
	v_cndmask_b32_e64 v40, 0, 0x42800000, s2
	v_cndmask_b32_e64 v43, 0, 0x42800000, vcc_lo
	v_exp_f32_e32 v34, v34
	.loc	1 40 24                         ; attention_fwd.py:40:24
	v_sub_f32_e32 v60, v60, v33
	s_delay_alu instid0(VALU_DEP_2) | instskip(SKIP_2) | instid1(VALU_DEP_3)
	.loc	1 40 19                         ; attention_fwd.py:40:19
	v_dual_fmac_f32 v40, 0x3fb8aa3b, v47 :: v_dual_fmac_f32 v43, 0x3fb8aa3b, v45
	v_cndmask_b32_e64 v45, 0, 0xffffffc0, s0
	v_cmp_gt_f32_e64 s0, 0xc2fc0000, v44
	v_exp_f32_e32 v40, v40
	s_waitcnt_depctr depctr_va_vdst(0)
	v_ldexp_f32 v46, v34, v46
	v_cndmask_b32_e64 v34, 0, 0xffffffc0, s2
	v_ldexp_f32 v45, v35, v45
	v_cndmask_b32_e64 v35, 0, 0xffffffc0, vcc_lo
	v_cndmask_b32_e64 v44, 0, 0x42800000, s0
	s_delay_alu instid0(VALU_DEP_4) | instskip(SKIP_3) | instid1(VALU_DEP_2)
	v_ldexp_f32 v69, v40, v34
.Ltmp54:
	.loc	2 263 15 is_stmt 1              ; standard.py:263:15 @[ standard.py:293:36 @[ attention_fwd.py:42:38 ] ]
	v_dual_add_f32 v34, v65, v32 :: v_dual_mul_f32 v47, 0x3fb8aa3b, v49
.Ltmp55:
	.loc	1 40 19                         ; attention_fwd.py:40:19
	v_cndmask_b32_e64 v40, 0, 0xffffffc0, s0
	v_exp_f32_e32 v43, v43
.Ltmp56:
	.loc	2 263 15                        ; standard.py:263:15 @[ standard.py:293:36 @[ attention_fwd.py:42:38 ] ]
	v_add_f32_e32 v34, v37, v34
	s_delay_alu instid0(VALU_DEP_3) | instskip(SKIP_1) | instid1(VALU_DEP_1)
.Ltmp57:
	.loc	1 40 19                         ; attention_fwd.py:40:19
	v_cmp_gt_f32_e32 vcc_lo, 0xc2fc0000, v47
	v_mul_f32_e32 v47, 0x3fb8aa3b, v50
	v_cmp_gt_f32_e64 s0, 0xc2fc0000, v47
	s_waitcnt_depctr depctr_va_vdst(0)
	v_ldexp_f32 v43, v43, v35
	v_cndmask_b32_e64 v47, 0, 0x42800000, s0
	s_delay_alu instid0(VALU_DEP_1) | instskip(SKIP_1) | instid1(VALU_DEP_2)
	v_dual_fmac_f32 v47, 0x3fb8aa3b, v50 :: v_dual_fmac_f32 v44, 0x3fb8aa3b, v48
	v_mul_f32_e32 v48, 0x3fb8aa3b, v51
	v_exp_f32_e32 v47, v47
	s_delay_alu instid0(VALU_DEP_2) | instskip(SKIP_1) | instid1(VALU_DEP_2)
	v_exp_f32_e32 v35, v44
	v_cndmask_b32_e64 v44, 0, 0x42800000, vcc_lo
	v_cmp_gt_f32_e64 s1, 0xc2fc0000, v48
	v_cndmask_b32_e64 v48, 0, 0xffffffc0, vcc_lo
	s_delay_alu instid0(VALU_DEP_3)
	v_dual_fmac_f32 v44, 0x3fb8aa3b, v49 :: v_dual_mul_f32 v49, 0x3fb8aa3b, v54
	s_waitcnt_depctr depctr_va_vdst(0)
	v_ldexp_f32 v70, v35, v40
	v_exp_f32_e32 v35, v44
	v_cndmask_b32_e64 v40, 0, 0x42800000, s1
	v_mul_f32_e32 v44, 0x3fb8aa3b, v52
	s_delay_alu instid0(VALU_DEP_2) | instskip(NEXT) | instid1(VALU_DEP_2)
	v_fmac_f32_e32 v40, 0x3fb8aa3b, v51
	v_cmp_gt_f32_e32 vcc_lo, 0xc2fc0000, v44
	s_waitcnt_depctr depctr_va_vdst(0)
	v_ldexp_f32 v50, v35, v48
	v_cndmask_b32_e64 v35, 0, 0xffffffc0, s0
	v_exp_f32_e32 v40, v40
	v_cndmask_b32_e64 v44, 0, 0x42800000, vcc_lo
	v_mul_f32_e32 v48, 0x3fb8aa3b, v53
	s_delay_alu instid0(VALU_DEP_3) | instskip(SKIP_1) | instid1(VALU_DEP_3)
	v_ldexp_f32 v47, v47, v35
	v_cndmask_b32_e64 v35, 0, 0xffffffc0, s1
	v_cmp_gt_f32_e64 s0, 0xc2fc0000, v48
	s_waitcnt_depctr depctr_va_vdst(0)
	v_ldexp_f32 v71, v40, v35
	v_cndmask_b32_e64 v35, 0, 0xffffffc0, vcc_lo
	v_cmp_gt_f32_e32 vcc_lo, 0xc2fc0000, v49
	v_dual_mul_f32 v49, 0x3fb8aa3b, v55 :: v_dual_fmac_f32 v44, 0x3fb8aa3b, v52
	v_cndmask_b32_e64 v48, 0, 0x42800000, s0
	v_cndmask_b32_e64 v51, 0, 0xffffffc0, s0
	v_cndmask_b32_e64 v40, 0, 0x42800000, vcc_lo
	s_delay_alu instid0(VALU_DEP_4)
	v_cmp_gt_f32_e64 s1, 0xc2fc0000, v49
	v_exp_f32_e32 v44, v44
	v_fmac_f32_e32 v48, 0x3fb8aa3b, v53
	.loc	1 46 27                         ; attention_fwd.py:46:27
	v_lshrrev_b32_e32 v52, 16, v68
	.loc	1 40 19                         ; attention_fwd.py:40:19
	s_waitcnt_depctr depctr_va_vdst(0)
	v_ldexp_f32 v44, v44, v35
	v_exp_f32_e32 v35, v48
	v_cndmask_b32_e64 v48, 0, 0x42800000, s1
	s_delay_alu instid0(VALU_DEP_1)
	v_fmac_f32_e32 v48, 0x3fb8aa3b, v55
	s_waitcnt_depctr depctr_va_vdst(0)
	v_ldexp_f32 v53, v35, v51
	v_mul_f32_e32 v51, 0x3fb8aa3b, v57
	v_cndmask_b32_e64 v35, 0, 0xffffffc0, vcc_lo
	v_exp_f32_e32 v48, v48
	s_delay_alu instid0(VALU_DEP_2) | instskip(SKIP_2) | instid1(VALU_DEP_1)
	v_cmp_gt_f32_e32 vcc_lo, 0xc2fc0000, v51
	v_mul_f32_e32 v51, 0x3fb8aa3b, v58
	v_dual_mul_f32 v49, 0x3fb8aa3b, v56 :: v_dual_fmac_f32 v40, 0x3fb8aa3b, v54
	v_cmp_gt_f32_e64 s0, 0xc2fc0000, v49
	s_delay_alu instid0(VALU_DEP_2) | instskip(NEXT) | instid1(VALU_DEP_1)
	v_exp_f32_e32 v40, v40
	v_cndmask_b32_e64 v49, 0, 0x42800000, s0
	s_delay_alu instid0(VALU_DEP_1)
	v_fmac_f32_e32 v49, 0x3fb8aa3b, v56
	s_waitcnt_depctr depctr_va_vdst(0)
	v_ldexp_f32 v54, v40, v35
	v_cndmask_b32_e64 v35, 0, 0xffffffc0, s1
	v_exp_f32_e32 v40, v49
	v_cndmask_b32_e64 v49, 0, 0x42800000, vcc_lo
.Ltmp58:
	.loc	2 263 15                        ; standard.py:263:15 @[ standard.py:293:36 @[ attention_fwd.py:42:38 ] ]
	v_add_f32_e32 v34, v66, v34
	s_delay_alu instid0(VALU_DEP_3) | instskip(SKIP_4) | instid1(VALU_DEP_3)
.Ltmp59:
	.loc	1 40 19                         ; attention_fwd.py:40:19
	v_ldexp_f32 v55, v48, v35
	v_cndmask_b32_e64 v35, 0, 0xffffffc0, s0
	v_cmp_gt_f32_e64 s0, 0xc2fc0000, v51
	v_fmac_f32_e32 v49, 0x3fb8aa3b, v57
	v_dual_mul_f32 v51, 0x3fb8aa3b, v59 :: v_dual_sub_f32 v62, v62, v33
	v_cndmask_b32_e64 v48, 0, 0x42800000, s0
	s_delay_alu instid0(TRANS32_DEP_1) | instskip(NEXT) | instid1(VALU_DEP_4)
	v_ldexp_f32 v72, v40, v35
	v_exp_f32_e32 v35, v49
	s_delay_alu instid0(VALU_DEP_3) | instskip(NEXT) | instid1(VALU_DEP_3)
	v_cmp_gt_f32_e64 s1, 0xc2fc0000, v51
	v_dual_mul_f32 v49, 0x3fb8aa3b, v60 :: v_dual_fmac_f32 v48, 0x3fb8aa3b, v58
	v_cndmask_b32_e64 v51, 0, 0xffffffc0, vcc_lo
	s_delay_alu instid0(VALU_DEP_3) | instskip(NEXT) | instid1(VALU_DEP_3)
	v_cndmask_b32_e64 v40, 0, 0x42800000, s1
	v_cmp_gt_f32_e32 vcc_lo, 0xc2fc0000, v49
	s_delay_alu instid0(VALU_DEP_4) | instskip(NEXT) | instid1(VALU_DEP_2)
	v_exp_f32_e32 v48, v48
	v_fmac_f32_e32 v40, 0x3fb8aa3b, v59
	v_cndmask_b32_e64 v49, 0, 0x42800000, vcc_lo
	s_delay_alu instid0(TRANS32_DEP_2)
	v_ldexp_f32 v59, v35, v51
	v_mul_f32_e32 v51, 0x3fb8aa3b, v61
	.loc	1 40 24 is_stmt 0               ; attention_fwd.py:40:24
	v_sub_f32_e32 v64, v64, v33
	.loc	1 40 19                         ; attention_fwd.py:40:19
	v_cndmask_b32_e64 v35, 0, 0xffffffc0, s0
	v_exp_f32_e32 v40, v40
	v_fmac_f32_e32 v49, 0x3fb8aa3b, v60
	v_cmp_gt_f32_e64 s0, 0xc2fc0000, v51
	v_mul_f32_e32 v51, 0x3fb8aa3b, v62
	v_ldexp_f32 v60, v48, v35
	v_cndmask_b32_e64 v35, 0, 0xffffffc0, s1
	v_exp_f32_e32 v48, v49
	v_cndmask_b32_e64 v49, 0, 0x42800000, s0
.Ltmp60:
	.loc	2 263 15 is_stmt 1              ; standard.py:263:15 @[ standard.py:293:36 @[ attention_fwd.py:42:38 ] ]
	v_add_f32_e32 v34, v68, v34
	s_delay_alu instid0(TRANS32_DEP_2) | instid1(VALU_DEP_3)
.Ltmp61:
	.loc	1 40 19                         ; attention_fwd.py:40:19
	v_ldexp_f32 v73, v40, v35
	v_cndmask_b32_e64 v35, 0, 0xffffffc0, vcc_lo
	s_delay_alu instid0(VALU_DEP_4)
	v_fmac_f32_e32 v49, 0x3fb8aa3b, v61
	v_cmp_gt_f32_e32 vcc_lo, 0xc2fc0000, v51
	v_mul_f32_e32 v51, 0x3fb8aa3b, v63
	s_delay_alu instid0(TRANS32_DEP_1) | instid1(VALU_DEP_4)
	v_ldexp_f32 v61, v48, v35
	s_delay_alu instid0(VALU_DEP_4) | instskip(SKIP_1) | instid1(VALU_DEP_3)
	v_exp_f32_e32 v35, v49
	v_cndmask_b32_e64 v40, 0, 0x42800000, vcc_lo
	v_cmp_gt_f32_e64 s1, 0xc2fc0000, v51
	v_mul_f32_e32 v49, 0x3fb8aa3b, v64
	v_cndmask_b32_e64 v51, 0, 0xffffffc0, s0
	s_delay_alu instid0(VALU_DEP_4) | instskip(NEXT) | instid1(VALU_DEP_4)
	v_fmac_f32_e32 v40, 0x3fb8aa3b, v62
	v_cndmask_b32_e64 v48, 0, 0x42800000, s1
	s_delay_alu instid0(VALU_DEP_4)
	v_cmp_gt_f32_e64 s0, 0xc2fc0000, v49
	s_delay_alu instid0(TRANS32_DEP_1) | instid1(VALU_DEP_4)
	v_ldexp_f32 v62, v35, v51
	s_delay_alu instid0(VALU_DEP_4) | instskip(NEXT) | instid1(VALU_DEP_3)
	v_exp_f32_e32 v40, v40
	v_fmac_f32_e32 v48, 0x3fb8aa3b, v63
	s_delay_alu instid0(VALU_DEP_3) | instskip(SKIP_1) | instid1(VALU_DEP_3)
	v_cndmask_b32_e64 v49, 0, 0x42800000, s0
	v_cndmask_b32_e64 v51, 0, 0xffffffc0, s1
	v_exp_f32_e32 v35, v48
	v_cndmask_b32_e64 v48, 0, 0xffffffc0, vcc_lo
	s_delay_alu instid0(VALU_DEP_3)
	v_fmac_f32_e32 v49, 0x3fb8aa3b, v64
	.loc	1 46 27                         ; attention_fwd.py:46:27
	v_cmp_o_f32_e32 vcc_lo, v65, v65
	s_delay_alu instid0(TRANS32_DEP_2) | instid1(VALU_DEP_3)
	.loc	1 40 19                         ; attention_fwd.py:40:19
	v_ldexp_f32 v63, v40, v48
	s_delay_alu instid0(VALU_DEP_3) | instskip(SKIP_2) | instid1(TRANS32_DEP_2)
	v_exp_f32_e32 v40, v49
	.loc	1 46 27                         ; attention_fwd.py:46:27
	v_lshrrev_b32_e32 v48, 16, v65
	.loc	1 40 19                         ; attention_fwd.py:40:19
	v_cndmask_b32_e64 v49, 0, 0xffffffc0, s0
	v_ldexp_f32 v64, v35, v51
	.loc	1 46 27                         ; attention_fwd.py:46:27
	v_lshrrev_b32_e32 v35, 16, v32
.Ltmp62:
	.loc	2 263 15                        ; standard.py:263:15 @[ standard.py:293:36 @[ attention_fwd.py:42:38 ] ]
	v_add_f32_e32 v34, v36, v34
.Ltmp63:
	.loc	1 46 27                         ; attention_fwd.py:46:27
	v_and_b32_e32 v48, 1, v48
	s_delay_alu instid0(VALU_DEP_3) | instskip(NEXT) | instid1(TRANS32_DEP_1)
	v_and_b32_e32 v35, 1, v35
	.loc	1 40 19                         ; attention_fwd.py:40:19
	v_ldexp_f32 v74, v40, v49
	s_delay_alu instid0(VALU_DEP_3)
	.loc	1 46 27                         ; attention_fwd.py:46:27
	v_add3_u32 v40, v65, v48, 0x7fff
	v_lshrrev_b32_e32 v48, 16, v37
	v_lshrrev_b32_e32 v49, 16, v66
	v_add3_u32 v35, v32, v35, 0x7fff
.Ltmp64:
	.loc	2 263 15                        ; standard.py:263:15 @[ standard.py:293:36 @[ attention_fwd.py:42:38 ] ]
	v_add_f32_e32 v34, v41, v34
.Ltmp65:
	.loc	1 46 27                         ; attention_fwd.py:46:27
	v_lshrrev_b32_e32 v40, 16, v40
	v_and_b32_e32 v48, 1, v48
	v_and_b32_e32 v49, 1, v49
	v_lshrrev_b32_e32 v35, 16, v35
	s_delay_alu instid0(VALU_DEP_4)
	v_cndmask_b32_e32 v40, 0x7fff, v40, vcc_lo
	v_cmp_o_f32_e32 vcc_lo, v32, v32
	v_add3_u32 v48, v37, v48, 0x7fff
	v_add3_u32 v51, v66, v49, 0x7fff
	v_cndmask_b32_e32 v32, 0x7fff, v35, vcc_lo
	v_cmp_o_f32_e32 vcc_lo, v37, v37
	s_delay_alu instid0(VALU_DEP_2)
	v_perm_b32 v49, v32, v40, 0x5040100
	v_lshrrev_b32_e32 v32, 16, v48
	v_lshrrev_b32_e32 v40, 16, v36
	;; [unrolled: 1-line block ×3, first 2 shown]
	v_and_b32_e32 v51, 1, v52
	v_lshrrev_b32_e32 v52, 16, v39
	v_cndmask_b32_e32 v32, 0x7fff, v32, vcc_lo
	v_cmp_o_f32_e32 vcc_lo, v66, v66
	v_and_b32_e32 v37, 1, v40
	v_cndmask_b32_e32 v40, 0x7fff, v48, vcc_lo
	v_add3_u32 v48, v68, v51, 0x7fff
	v_lshrrev_b32_e32 v51, 16, v41
	s_delay_alu instid0(VALU_DEP_4)
	v_add3_u32 v37, v36, v37, 0x7fff
	v_cmp_o_f32_e32 vcc_lo, v68, v68
	v_perm_b32 v56, v40, v32, 0x5040100
	v_lshrrev_b32_e32 v32, 16, v48
	v_and_b32_e32 v40, 1, v51
	v_and_b32_e32 v48, 1, v52
	v_lshrrev_b32_e32 v37, 16, v37
	v_lshrrev_b32_e32 v51, 16, v42
	v_cndmask_b32_e32 v32, 0x7fff, v32, vcc_lo
	v_add3_u32 v40, v41, v40, 0x7fff
	v_cmp_o_f32_e32 vcc_lo, v36, v36
	s_delay_alu instid0(VALU_DEP_4)
.Ltmp66:
	.loc	2 263 15                        ; standard.py:263:15 @[ standard.py:293:36 @[ attention_fwd.py:42:38 ] ]
	v_dual_add_f32 v34, v39, v34 :: v_dual_and_b32 v51, 1, v51
.Ltmp67:
	.loc	1 46 27                         ; attention_fwd.py:46:27
	v_add3_u32 v48, v39, v48, 0x7fff
	v_cndmask_b32_e32 v36, 0x7fff, v37, vcc_lo
	v_lshrrev_b32_e32 v37, 16, v40
	v_cmp_o_f32_e32 vcc_lo, v41, v41
.Ltmp68:
	.loc	2 263 15                        ; standard.py:263:15 @[ standard.py:293:36 @[ attention_fwd.py:42:38 ] ]
	v_add_f32_e32 v34, v42, v34
.Ltmp69:
	.loc	1 46 27                         ; attention_fwd.py:46:27
	v_lshrrev_b32_e32 v40, 16, v38
	v_lshrrev_b32_e32 v48, 16, v48
	v_add3_u32 v41, v42, v51, 0x7fff
	v_cndmask_b32_e32 v37, 0x7fff, v37, vcc_lo
	v_cmp_o_f32_e32 vcc_lo, v39, v39
.Ltmp70:
	.loc	2 263 15                        ; standard.py:263:15 @[ standard.py:293:36 @[ attention_fwd.py:42:38 ] ]
	v_add_f32_e32 v34, v38, v34
.Ltmp71:
	.loc	1 46 27                         ; attention_fwd.py:46:27
	v_and_b32_e32 v40, 1, v40
	v_perm_b32 v57, v36, v32, 0x5040100
	v_lshrrev_b32_e32 v36, 16, v67
	v_cndmask_b32_e32 v39, 0x7fff, v48, vcc_lo
	v_cmp_o_f32_e32 vcc_lo, v42, v42
	v_add3_u32 v32, v38, v40, 0x7fff
	v_lshrrev_b32_e32 v42, 16, v55
	v_and_b32_e32 v36, 1, v36
	v_perm_b32 v58, v39, v37, 0x5040100
	v_lshrrev_b32_e32 v37, 16, v41
.Ltmp72:
	.loc	2 263 15                        ; standard.py:263:15 @[ standard.py:293:36 @[ attention_fwd.py:42:38 ] ]
	v_add_f32_e32 v34, v67, v34
.Ltmp73:
	.loc	1 46 27                         ; attention_fwd.py:46:27
	v_lshrrev_b32_e32 v39, 16, v45
	v_lshrrev_b32_e32 v32, 16, v32
	v_add3_u32 v36, v67, v36, 0x7fff
	v_cndmask_b32_e32 v37, 0x7fff, v37, vcc_lo
	v_cmp_o_f32_e32 vcc_lo, v38, v38
	v_and_b32_e32 v39, 1, v39
	v_lshrrev_b32_e32 v38, 16, v43
	v_lshrrev_b32_e32 v41, 16, v46
	v_cndmask_b32_e32 v32, 0x7fff, v32, vcc_lo
	s_delay_alu instid0(VALU_DEP_4) | instskip(SKIP_1) | instid1(VALU_DEP_3)
	v_add3_u32 v39, v45, v39, 0x7fff
	v_cmp_o_f32_e32 vcc_lo, v67, v67
	v_perm_b32 v40, v32, v37, 0x5040100
	v_lshrrev_b32_e32 v32, 16, v36
	v_and_b32_e32 v36, 1, v38
	v_and_b32_e32 v37, 1, v41
	v_lshrrev_b32_e32 v38, 16, v39
	v_lshrrev_b32_e32 v39, 16, v69
	v_cndmask_b32_e32 v32, 0x7fff, v32, vcc_lo
	v_add3_u32 v36, v43, v36, 0x7fff
	v_cmp_o_f32_e32 vcc_lo, v45, v45
	v_add3_u32 v37, v46, v37, 0x7fff
.Ltmp74:
	.loc	2 263 15                        ; standard.py:263:15 @[ standard.py:293:36 @[ attention_fwd.py:42:38 ] ]
	v_dual_add_f32 v34, v45, v34 :: v_dual_and_b32 v39, 1, v39
	s_delay_alu instid0(VALU_DEP_4)
.Ltmp75:
	.loc	1 46 27                         ; attention_fwd.py:46:27
	v_lshrrev_b32_e32 v36, 16, v36
	v_cndmask_b32_e32 v38, 0x7fff, v38, vcc_lo
	v_cmp_o_f32_e32 vcc_lo, v43, v43
	v_lshrrev_b32_e32 v41, 16, v70
	v_lshrrev_b32_e32 v37, 16, v37
	v_add3_u32 v39, v69, v39, 0x7fff
	v_perm_b32 v48, v38, v32, 0x5040100
	v_cndmask_b32_e32 v36, 0x7fff, v36, vcc_lo
	v_cmp_o_f32_e32 vcc_lo, v46, v46
.Ltmp76:
	.loc	2 263 15                        ; standard.py:263:15 @[ standard.py:293:36 @[ attention_fwd.py:42:38 ] ]
	v_dual_add_f32 v34, v43, v34 :: v_dual_and_b32 v41, 1, v41
.Ltmp77:
	.loc	1 46 27                         ; attention_fwd.py:46:27
	v_lshrrev_b32_e32 v38, 16, v50
	v_lshrrev_b32_e32 v43, 16, v60
	v_cndmask_b32_e32 v37, 0x7fff, v37, vcc_lo
	v_cmp_o_f32_e32 vcc_lo, v69, v69
	v_add3_u32 v32, v70, v41, 0x7fff
	v_and_b32_e32 v38, 1, v38
	v_lshrrev_b32_e32 v41, 16, v44
	v_perm_b32 v51, v37, v36, 0x5040100
	v_lshrrev_b32_e32 v36, 16, v39
	v_lshrrev_b32_e32 v37, 16, v47
	v_lshrrev_b32_e32 v32, 16, v32
.Ltmp78:
	.loc	2 263 15                        ; standard.py:263:15 @[ standard.py:293:36 @[ attention_fwd.py:42:38 ] ]
	v_add_f32_e32 v34, v46, v34
.Ltmp79:
	.loc	1 46 27                         ; attention_fwd.py:46:27
	v_add3_u32 v38, v50, v38, 0x7fff
	v_cndmask_b32_e32 v36, 0x7fff, v36, vcc_lo
	v_cmp_o_f32_e32 vcc_lo, v70, v70
	v_and_b32_e32 v37, 1, v37
	v_lshrrev_b32_e32 v39, 16, v71
	v_lshrrev_b32_e32 v46, 16, v62
	;; [unrolled: 1-line block ×3, first 2 shown]
	v_cndmask_b32_e32 v32, 0x7fff, v32, vcc_lo
	v_add3_u32 v37, v47, v37, 0x7fff
	v_cmp_o_f32_e32 vcc_lo, v50, v50
	v_and_b32_e32 v46, 1, v46
	v_and_b32_e32 v45, 1, v45
	v_perm_b32 v52, v32, v36, 0x5040100
	v_lshrrev_b32_e32 v32, 16, v38
	v_and_b32_e32 v36, 1, v39
	v_and_b32_e32 v38, 1, v41
	v_lshrrev_b32_e32 v37, 16, v37
	v_lshrrev_b32_e32 v39, 16, v53
	v_cndmask_b32_e32 v32, 0x7fff, v32, vcc_lo
	v_add3_u32 v36, v71, v36, 0x7fff
	v_cmp_o_f32_e32 vcc_lo, v47, v47
.Ltmp80:
	.loc	2 263 15                        ; standard.py:263:15 @[ standard.py:293:36 @[ attention_fwd.py:42:38 ] ]
	v_add_f32_e32 v34, v69, v34
.Ltmp81:
	.loc	1 46 27                         ; attention_fwd.py:46:27
	v_add3_u32 v38, v44, v38, 0x7fff
	v_lshrrev_b32_e32 v41, 16, v54
	v_lshrrev_b32_e32 v36, 16, v36
	v_cndmask_b32_e32 v37, 0x7fff, v37, vcc_lo
	v_cmp_o_f32_e32 vcc_lo, v71, v71
.Ltmp82:
	.loc	2 263 15                        ; standard.py:263:15 @[ standard.py:293:36 @[ attention_fwd.py:42:38 ] ]
	v_dual_add_f32 v34, v70, v34 :: v_dual_and_b32 v39, 1, v39
.Ltmp83:
	.loc	1 46 27                         ; attention_fwd.py:46:27
	v_lshrrev_b32_e32 v38, 16, v38
	v_dual_cndmask_b32 v36, 0x7fff, v36 :: v_dual_and_b32 v41, 1, v41
	v_cmp_o_f32_e32 vcc_lo, v44, v44
	s_delay_alu instid0(VALU_DEP_4)
.Ltmp84:
	.loc	2 263 15                        ; standard.py:263:15 @[ standard.py:293:36 @[ attention_fwd.py:42:38 ] ]
	v_add_f32_e32 v34, v50, v34
.Ltmp85:
	.loc	1 46 27                         ; attention_fwd.py:46:27
	v_add3_u32 v39, v53, v39, 0x7fff
	v_perm_b32 v32, v37, v32, 0x5040100
	v_add3_u32 v37, v54, v41, 0x7fff
	v_cndmask_b32_e32 v38, 0x7fff, v38, vcc_lo
	v_cmp_o_f32_e32 vcc_lo, v53, v53
	v_lshrrev_b32_e32 v50, 16, v64
	v_add3_u32 v46, v62, v46, 0x7fff
	v_lshrrev_b32_e32 v37, 16, v37
	v_perm_b32 v41, v38, v36, 0x5040100
	v_lshrrev_b32_e32 v36, 16, v39
	v_lshrrev_b32_e32 v38, 16, v72
	v_and_b32_e32 v39, 1, v42
	v_add3_u32 v45, v63, v45, 0x7fff
	v_and_b32_e32 v50, 1, v50
	v_cndmask_b32_e32 v36, 0x7fff, v36, vcc_lo
	v_cmp_o_f32_e32 vcc_lo, v54, v54
.Ltmp86:
	.loc	2 263 15                        ; standard.py:263:15 @[ standard.py:293:36 @[ attention_fwd.py:42:38 ] ]
	v_add_f32_e32 v34, v47, v34
.Ltmp87:
	.loc	1 46 27                         ; attention_fwd.py:46:27
	v_and_b32_e32 v38, 1, v38
	v_add3_u32 v39, v55, v39, 0x7fff
	v_lshrrev_b32_e32 v47, 16, v74
	s_delay_alu instid0(VALU_DEP_4) | instskip(NEXT) | instid1(VALU_DEP_4)
	v_dual_cndmask_b32 v37, 0x7fff, v37 :: v_dual_add_f32 v34, v71, v34
	v_add3_u32 v38, v72, v38, 0x7fff
	v_cmp_o_f32_e32 vcc_lo, v55, v55
	s_delay_alu instid0(VALU_DEP_4) | instskip(NEXT) | instid1(VALU_DEP_4)
	v_and_b32_e32 v47, 1, v47
	v_perm_b32 v42, v37, v36, 0x5040100
	v_and_b32_e32 v37, 1, v43
	v_lshrrev_b32_e32 v43, 16, v61
.Ltmp88:
	.loc	2 263 15                        ; standard.py:263:15 @[ standard.py:293:36 @[ attention_fwd.py:42:38 ] ]
	v_add_f32_e32 v34, v44, v34
.Ltmp89:
	.loc	1 46 27                         ; attention_fwd.py:46:27
	v_lshrrev_b32_e32 v44, 16, v59
	v_lshrrev_b32_e32 v36, 16, v39
	;; [unrolled: 1-line block ×3, first 2 shown]
	v_add3_u32 v37, v60, v37, 0x7fff
	v_and_b32_e32 v43, 1, v43
	v_and_b32_e32 v39, 1, v44
	v_cndmask_b32_e32 v36, 0x7fff, v36, vcc_lo
	v_lshrrev_b32_e32 v44, 16, v73
	v_cmp_o_f32_e32 vcc_lo, v72, v72
	v_lshrrev_b32_e32 v37, 16, v37
	v_add3_u32 v39, v59, v39, 0x7fff
	v_add3_u32 v43, v61, v43, 0x7fff
	v_and_b32_e32 v44, 1, v44
	v_cndmask_b32_e32 v38, 0x7fff, v38, vcc_lo
	v_cmp_o_f32_e32 vcc_lo, v59, v59
	v_lshrrev_b32_e32 v39, 16, v39
.Ltmp90:
	.loc	2 263 15                        ; standard.py:263:15 @[ standard.py:293:36 @[ attention_fwd.py:42:38 ] ]
	v_add_f32_e32 v34, v53, v34
.Ltmp91:
	.loc	1 46 27                         ; attention_fwd.py:46:27
	v_add3_u32 v44, v73, v44, 0x7fff
	v_lshrrev_b32_e32 v43, 16, v43
	v_lshrrev_b32_e32 v45, 16, v45
	v_cndmask_b32_e32 v39, 0x7fff, v39, vcc_lo
	v_cmp_o_f32_e32 vcc_lo, v60, v60
.Ltmp92:
	.loc	2 263 15                        ; standard.py:263:15 @[ standard.py:293:36 @[ attention_fwd.py:42:38 ] ]
	v_add_f32_e32 v34, v54, v34
.Ltmp93:
	.loc	1 46 27                         ; attention_fwd.py:46:27
	v_lshrrev_b32_e32 v44, 16, v44
	v_add3_u32 v47, v74, v47, 0x7fff
	v_permlanex16_b32 v152, v40, s3, 0xfedcba98 op_sel:[1,0]
	s_delay_alu instid0(VALU_DEP_4) | instskip(SKIP_3) | instid1(VALU_DEP_4)
	v_dual_cndmask_b32 v37, 0x7fff, v37 :: v_dual_add_f32 v34, v55, v34
	v_cmp_o_f32_e32 vcc_lo, v73, v73
	v_permlanex16_b32 v148, v32, s3, 0xfedcba98 op_sel:[1,0]
	v_permlanex16_b32 v54, v41, s3, 0xfedcba98 op_sel:[1,0]
	v_perm_b32 v146, v37, v39, 0x5040100
.Ltmp94:
	.loc	2 263 15                        ; standard.py:263:15 @[ standard.py:293:36 @[ attention_fwd.py:42:38 ] ]
	v_add_f32_e32 v34, v72, v34
.Ltmp95:
	.loc	1 46 27                         ; attention_fwd.py:46:27
	v_cndmask_b32_e32 v44, 0x7fff, v44, vcc_lo
	v_cmp_o_f32_e32 vcc_lo, v61, v61
	v_permlanex16_b32 v55, v42, s3, 0xfedcba98 op_sel:[1,0]
	v_permlanex16_b32 v147, v146, s3, 0xfedcba98 op_sel:[1,0]
.Ltmp96:
	.loc	2 263 15                        ; standard.py:263:15 @[ standard.py:293:36 @[ attention_fwd.py:42:38 ] ]
	v_add_f32_e32 v34, v59, v34
.Ltmp97:
	.loc	1 46 27                         ; attention_fwd.py:46:27
	v_permlanex16_b32 v59, v49, s3, 0xfedcba98 op_sel:[1,0]
	v_cndmask_b32_e32 v53, 0x7fff, v43, vcc_lo
	v_lshrrev_b32_e32 v43, 16, v46
	v_cmp_o_f32_e32 vcc_lo, v62, v62
	v_add3_u32 v46, v64, v50, 0x7fff
	s_delay_alu instid0(VALU_DEP_4)
	v_perm_b32 v44, v53, v44, 0x5040100
	v_permlanex16_b32 v53, v52, s3, 0xfedcba98 op_sel:[1,0]
	v_cndmask_b32_e32 v50, 0x7fff, v43, vcc_lo
	v_cmp_o_f32_e32 vcc_lo, v63, v63
.Ltmp98:
	.loc	2 263 15                        ; standard.py:263:15 @[ standard.py:293:36 @[ attention_fwd.py:42:38 ] ]
	v_add_f32_e32 v34, v60, v34
.Ltmp99:
	.loc	1 46 27                         ; attention_fwd.py:46:27
	v_lshrrev_b32_e32 v43, 16, v46
	v_lshrrev_b32_e32 v46, 16, v47
	v_permlanex16_b32 v60, v57, s3, 0xfedcba98 op_sel:[1,0]
	v_cndmask_b32_e32 v45, 0x7fff, v45, vcc_lo
	v_cmp_o_f32_e32 vcc_lo, v64, v64
.Ltmp100:
	.loc	2 263 15                        ; standard.py:263:15 @[ standard.py:293:36 @[ attention_fwd.py:42:38 ] ]
	v_dual_add_f32 v34, v73, v34 :: v_dual_cndmask_b32 v47, 0x7fff, v43
	s_delay_alu instid0(VALU_DEP_1)
	v_add_f32_e32 v34, v61, v34
.Ltmp101:
	.loc	1 46 27                         ; attention_fwd.py:46:27
	v_cmp_o_f32_e32 vcc_lo, v74, v74
	v_perm_b32 v43, v38, v36, 0x5040100
	v_perm_b32 v36, v45, v50, 0x5040100
	v_permlanex16_b32 v61, v58, s3, 0xfedcba98 op_sel:[1,0]
.Ltmp102:
	.loc	2 263 15                        ; standard.py:263:15 @[ standard.py:293:36 @[ attention_fwd.py:42:38 ] ]
	v_add_f32_e32 v34, v62, v34
.Ltmp103:
	.loc	1 46 27                         ; attention_fwd.py:46:27
	v_cndmask_b32_e32 v46, 0x7fff, v46, vcc_lo
	v_permlanex16_b32 v50, v48, s3, 0xfedcba98 op_sel:[1,0]
	v_permlanex16_b32 v62, v51, s3, 0xfedcba98 op_sel:[1,0]
	;; [unrolled: 1-line block ×3, first 2 shown]
.Ltmp104:
	.loc	2 263 15                        ; standard.py:263:15 @[ standard.py:293:36 @[ attention_fwd.py:42:38 ] ]
	v_add_f32_e32 v34, v63, v34
.Ltmp105:
	.loc	1 46 27                         ; attention_fwd.py:46:27
	v_perm_b32 v37, v46, v47, 0x5040100
	v_permlanex16_b32 v46, v44, s3, 0xfedcba98 op_sel:[1,0]
	v_permlanex16_b32 v47, v36, s3, 0xfedcba98 op_sel:[1,0]
	.loc	1 46 37 is_stmt 0               ; attention_fwd.py:46:37
	s_and_not1_b32 vcc_lo, exec_lo, s66
.Ltmp106:
	.loc	2 263 15 is_stmt 1              ; standard.py:263:15 @[ standard.py:293:36 @[ attention_fwd.py:42:38 ] ]
	v_add_f32_e32 v34, v64, v34
.Ltmp107:
	.loc	1 46 27                         ; attention_fwd.py:46:27
	v_permlanex16_b32 v64, v56, s3, 0xfedcba98 op_sel:[1,0]
	v_permlanex16_b32 v38, v37, s3, 0xfedcba98 op_sel:[1,0]
	s_delay_alu instid0(VALU_DEP_3) | instskip(NEXT) | instid1(VALU_DEP_1)
.Ltmp108:
	.loc	2 263 15                        ; standard.py:263:15 @[ standard.py:293:36 @[ attention_fwd.py:42:38 ] ]
	v_add_f32_e32 v34, v74, v34
.Ltmp109:
	.loc	2 293 36                        ; standard.py:293:36 @[ attention_fwd.py:42:38 ]
	v_permlanex16_b32 v35, v34, s3, 0xfedcba98 op_sel:[1,0]
	s_cbranch_vccz .LBB0_330
.Ltmp110:
; %bb.328:
	.loc	1 50 23                         ; attention_fwd.py:50:23
	s_mov_b32 s0, exec_lo
	.loc	1 21 47                         ; attention_fwd.py:21:47
	v_cmpx_gt_i32_e64 s100, v114
	s_cbranch_execnz .LBB0_331
.LBB0_329:                              ; %.critedge60
	.loc	1 50 4                          ; attention_fwd.py:50:4
	s_endpgm
.LBB0_330:
	.loc	1 46 27                         ; attention_fwd.py:46:27
	scratch_load_b32 v63, off, off offset:244 ; 4-byte Folded Reload
	.loc	1 41 29                         ; attention_fwd.py:41:29
	v_sub_f32_e32 v33, v109, v33
.Ltmp111:
	.loc	2 263 15                        ; standard.py:263:15 @[ standard.py:293:36 @[ attention_fwd.py:42:38 ] ]
	v_add_f32_e32 v149, v34, v35
	s_delay_alu instid0(VALU_DEP_2) | instskip(NEXT) | instid1(VALU_DEP_1)
.Ltmp112:
	.loc	1 41 23                         ; attention_fwd.py:41:23
	v_mul_f32_e32 v39, 0x3fb8aa3b, v33
	v_cmp_gt_f32_e32 vcc_lo, 0xc2fc0000, v39
	v_cndmask_b32_e64 v39, 0, 0x42800000, vcc_lo
	v_cndmask_b32_e64 v65, 0, 0xffffffc0, vcc_lo
	s_delay_alu instid0(VALU_DEP_2) | instskip(NEXT) | instid1(VALU_DEP_1)
	v_fmac_f32_e32 v39, 0x3fb8aa3b, v33
	v_exp_f32_e32 v33, v39
	s_waitcnt_depctr depctr_va_vdst(0)
	v_ldexp_f32 v150, v33, v65
	s_delay_alu instid0(VALU_DEP_1)
	.loc	1 46 27                         ; attention_fwd.py:46:27
	v_dual_mov_b32 v39, 0x7632 :: v_dual_mul_f32 v24, v24, v150
	.loc	1 43 20                         ; attention_fwd.py:43:20
	v_mul_f32_e32 v12, v12, v150
	v_mul_f32_e32 v31, v31, v150
	;; [unrolled: 1-line block ×25, first 2 shown]
	.loc	1 42 28                         ; attention_fwd.py:42:28
	v_fmac_f32_e32 v149, v227, v150
	.loc	1 43 20                         ; attention_fwd.py:43:20
	v_mul_f32_e32 v10, v10, v150
	s_delay_alu instid0(VALU_DEP_2) | instskip(SKIP_3) | instid1(VALU_DEP_2)
	v_dual_mul_f32 v22, v22, v150 :: v_dual_mov_b32 v227, v149
	.loc	1 46 27                         ; attention_fwd.py:46:27
	s_waitcnt vmcnt(0)
	v_cmp_eq_u32_e64 s0, 0, v63
	v_mov_b32_e32 v63, 0x5410
	v_cndmask_b32_e64 v39, 0x3276, v39, s0
	s_delay_alu instid0(VALU_DEP_2) | instskip(NEXT) | instid1(VALU_DEP_2)
	v_cndmask_b32_e64 v63, 0x1054, v63, s0
	v_lshl_or_b32 v33, v39, 8, v39
	s_delay_alu instid0(VALU_DEP_2)
	v_lshl_or_b32 v39, v63, 8, v63
	.loc	1 43 20                         ; attention_fwd.py:43:20
	v_mul_f32_e32 v20, v20, v150
	v_mul_f32_e32 v18, v18, v150
	.loc	1 45 20                         ; attention_fwd.py:45:20
	ds_load_u16 v63, v115 offset:7936
	.loc	1 46 27                         ; attention_fwd.py:46:27
	v_and_b32_e32 v33, 0x760076, v33
	v_and_b32_e32 v39, 0x540054, v39
	s_delay_alu instid0(VALU_DEP_2) | instskip(NEXT) | instid1(VALU_DEP_2)
	v_lshl_or_b32 v33, v33, 4, v33
	v_lshl_or_b32 v39, v39, 4, v39
	.loc	1 43 20                         ; attention_fwd.py:43:20
	v_mul_f32_e32 v16, v16, v150
	s_delay_alu instid0(VALU_DEP_3) | instskip(NEXT) | instid1(VALU_DEP_3)
	v_dual_mul_f32 v14, v14, v150 :: v_dual_and_b32 v153, 0x7060706, v33
	.loc	1 46 27                         ; attention_fwd.py:46:27
	v_and_b32_e32 v151, 0x5040504, v39
	s_delay_alu instid0(VALU_DEP_2) | instskip(NEXT) | instid1(VALU_DEP_2)
	v_perm_b32 v39, v38, v37, v153
	v_perm_b32 v38, v38, v37, v151
	;; [unrolled: 1-line block ×16, first 2 shown]
	.loc	1 45 20                         ; attention_fwd.py:45:20
	ds_load_u16 v62, v115 offset:7680
	.loc	1 46 27                         ; attention_fwd.py:46:27
	v_perm_b32 v95, v61, v58, v153
	v_perm_b32 v94, v61, v58, v151
	.loc	1 45 20                         ; attention_fwd.py:45:20
	ds_load_u16 v61, v115 offset:7424
	.loc	1 46 27                         ; attention_fwd.py:46:27
	v_perm_b32 v93, v60, v57, v153
	v_perm_b32 v92, v60, v57, v151
	.loc	1 45 20                         ; attention_fwd.py:45:20
	ds_load_u16 v60, v115 offset:7168
	.loc	1 46 27                         ; attention_fwd.py:46:27
	v_perm_b32 v89, v59, v49, v153
	v_perm_b32 v88, v59, v49, v151
	.loc	1 45 20                         ; attention_fwd.py:45:20
	ds_load_u16 v59, v115 offset:6912
	ds_load_u16 v96, v115 offset:2112
	;; [unrolled: 1-line block ×4, first 2 shown]
	s_waitcnt lgkmcnt(7)
	ds_load_u16_d16_hi v63, v115 offset:8064
	ds_load_u16 v79, v115 offset:7968
	ds_load_u16 v87, v115 offset:8000
	ds_load_u16 v70, v115 offset:7776
	s_waitcnt lgkmcnt(10)
	ds_load_u16_d16_hi v62, v115 offset:7808
	ds_load_u16 v78, v115 offset:7712
	ds_load_u16 v86, v115 offset:7744
	ds_load_u16 v69, v115 offset:7520
	s_waitcnt lgkmcnt(13)
	ds_load_u16_d16_hi v61, v115 offset:7552
	ds_load_u16 v77, v115 offset:7456
	ds_load_u16 v85, v115 offset:7488
	ds_load_u16 v68, v115 offset:7264
	s_waitcnt lgkmcnt(16)
	ds_load_u16_d16_hi v60, v115 offset:7296
	ds_load_u16 v76, v115 offset:7200
	ds_load_u16 v84, v115 offset:7232
	ds_load_u16 v67, v115 offset:7008
	.loc	1 46 27                         ; attention_fwd.py:46:27
	v_perm_b32 v91, v64, v56, v153
	v_perm_b32 v90, v64, v56, v151
	v_perm_b32 v51, v50, v48, v153
	.loc	1 45 20                         ; attention_fwd.py:45:20
	s_waitcnt lgkmcnt(19)
	ds_load_u16_d16_hi v59, v115 offset:7040
	ds_load_u16 v75, v115 offset:6944
	ds_load_u16 v83, v115 offset:6976
	;; [unrolled: 1-line block ×3, first 2 shown]
	s_waitcnt lgkmcnt(21)
	ds_load_u16_d16_hi v58, v115 offset:6784
	ds_load_u16 v74, v115 offset:6688
	s_waitcnt lgkmcnt(22)
	ds_load_u16_d16_hi v71, v115 offset:8160
	s_waitcnt lgkmcnt(21)
	ds_load_u16_d16_hi v79, v115 offset:8096
	ds_load_u16 v57, v115 offset:6400
	s_waitcnt lgkmcnt(21)
	ds_load_u16_d16_hi v70, v115 offset:7904
	ds_load_u16_d16_hi v87, v115 offset:8128
	s_waitcnt lgkmcnt(21)
	ds_load_u16_d16_hi v78, v115 offset:7840
	s_waitcnt lgkmcnt(21)
	;; [unrolled: 2-line block ×4, first 2 shown]
	ds_load_u16_d16_hi v77, v115 offset:7584
	ds_load_u16 v111, v115 offset:5888
	s_waitcnt lgkmcnt(21)
	ds_load_u16_d16_hi v85, v115 offset:7616
	s_waitcnt lgkmcnt(21)
	ds_load_u16_d16_hi v68, v115 offset:7392
	s_waitcnt lgkmcnt(20)
	ds_load_u16_d16_hi v76, v115 offset:7328
	ds_load_u16 v110, v115 offset:5632
	s_waitcnt lgkmcnt(21)
	ds_load_u16_d16_hi v84, v115 offset:7360
	s_waitcnt lgkmcnt(21)
	ds_load_u16_d16_hi v67, v115 offset:7136
	.loc	1 46 27                         ; attention_fwd.py:46:27
	v_perm_b32 v50, v50, v48, v151
	.loc	1 45 20                         ; attention_fwd.py:45:20
	s_waitcnt lgkmcnt(20)
	ds_load_u16_d16_hi v75, v115 offset:7072
	ds_load_u16 v109, v115 offset:5376
	s_waitcnt lgkmcnt(21)
	ds_load_u16_d16_hi v83, v115 offset:7104
	s_waitcnt lgkmcnt(21)
	ds_load_u16_d16_hi v66, v115 offset:6880
	;; [unrolled: 2-line block ×3, first 2 shown]
	ds_load_u16 v108, v115 offset:5120
	ds_load_u16 v82, v115 offset:6720
	;; [unrolled: 1-line block ×3, first 2 shown]
	s_waitcnt lgkmcnt(21)
	ds_load_u16_d16_hi v57, v115 offset:6528
	ds_load_u16 v73, v115 offset:6432
	ds_load_u16 v107, v115 offset:4864
	ds_load_u16 v161, v115 offset:5984
	ds_load_u16 v80, v115 offset:6208
	ds_load_u16 v56, v115 offset:6144
	s_waitcnt lgkmcnt(20)
	ds_load_u16_d16_hi v111, v115 offset:6016
	ds_load_u16 v169, v115 offset:5920
	ds_load_u16 v177, v115 offset:5952
	;; [unrolled: 1-line block ×3, first 2 shown]
	s_waitcnt lgkmcnt(20)
	ds_load_u16_d16_hi v110, v115 offset:5760
	ds_load_u16 v168, v115 offset:5664
	ds_load_u16 v106, v115 offset:4608
	ds_load_u16 v176, v115 offset:5696
	ds_load_u16 v159, v115 offset:5472
	.loc	1 46 27                         ; attention_fwd.py:46:27
	v_perm_b32 v49, v152, v40, v153
	v_perm_b32 v48, v152, v40, v151
	;; [unrolled: 1-line block ×3, first 2 shown]
	.loc	1 45 20                         ; attention_fwd.py:45:20
	s_waitcnt lgkmcnt(21)
	ds_load_u16_d16_hi v109, v115 offset:5504
	ds_load_u16 v167, v115 offset:5408
	ds_load_u16 v175, v115 offset:5440
	;; [unrolled: 1-line block ×3, first 2 shown]
	s_waitcnt lgkmcnt(21)
	ds_load_u16_d16_hi v108, v115 offset:5248
	ds_load_u16 v166, v115 offset:5152
	ds_load_u16 v174, v115 offset:5184
	;; [unrolled: 1-line block ×3, first 2 shown]
	s_waitcnt lgkmcnt(20)
	ds_load_u16_d16_hi v107, v115 offset:4992
	ds_load_u16 v165, v115 offset:4896
	ds_load_u16 v81, v115 offset:6464
	s_waitcnt lgkmcnt(21)
	ds_load_u16_d16_hi v80, v115 offset:6336
	ds_load_u16 v64, v115 offset:6240
	ds_load_u16_d16_hi v161, v115 offset:6112
	s_waitcnt lgkmcnt(23)
	ds_load_u16_d16_hi v56, v115 offset:6272
	ds_load_u16 v72, v115 offset:6176
	s_waitcnt lgkmcnt(23)
	ds_load_u16_d16_hi v169, v115 offset:6048
	ds_load_u16 v185, v115 offset:3840
	ds_load_u16 v173, v115 offset:4928
	;; [unrolled: 1-line block ×3, first 2 shown]
	s_waitcnt lgkmcnt(22)
	ds_load_u16_d16_hi v106, v115 offset:4736
	ds_load_u16 v164, v115 offset:4640
	ds_load_u16_d16_hi v177, v115 offset:6080
	ds_load_u16_d16_hi v160, v115 offset:5856
	;; [unrolled: 1-line block ×3, first 2 shown]
	ds_load_u16 v105, v115 offset:4352
	s_waitcnt lgkmcnt(27)
	ds_load_u16_d16_hi v176, v115 offset:5824
	s_waitcnt lgkmcnt(27)
	ds_load_u16_d16_hi v159, v115 offset:5600
	.loc	1 46 27                         ; attention_fwd.py:46:27
	v_perm_b32 v40, v148, v32, v151
	.loc	1 45 20                         ; attention_fwd.py:45:20
	s_waitcnt lgkmcnt(26)
	ds_load_u16_d16_hi v167, v115 offset:5536
	s_waitcnt lgkmcnt(26)
	ds_load_u16_d16_hi v175, v115 offset:5568
	;; [unrolled: 2-line block ×4, first 2 shown]
	ds_load_u16 v184, v115 offset:3584
	s_waitcnt lgkmcnt(26)
	ds_load_u16_d16_hi v174, v115 offset:5312
	s_waitcnt lgkmcnt(26)
	ds_load_u16_d16_hi v157, v115 offset:5088
	;; [unrolled: 2-line block ×3, first 2 shown]
	ds_load_u16 v170, v115 offset:4160
	ds_load_u16 v193, v115 offset:3936
	;; [unrolled: 1-line block ×3, first 2 shown]
	s_waitcnt lgkmcnt(21)
	ds_load_u16_d16_hi v185, v115 offset:3968
	ds_load_u16 v201, v115 offset:3872
	s_waitcnt lgkmcnt(22)
	ds_load_u16_d16_hi v173, v115 offset:5056
	s_waitcnt lgkmcnt(22)
	ds_load_u16_d16_hi v156, v115 offset:4832
	;; [unrolled: 2-line block ×3, first 2 shown]
	ds_load_u16 v183, v115 offset:3328
	ds_load_u16 v172, v115 offset:4672
	;; [unrolled: 1-line block ×3, first 2 shown]
	s_waitcnt lgkmcnt(21)
	ds_load_u16_d16_hi v105, v115 offset:4480
	ds_load_u16 v163, v115 offset:4384
	ds_load_u16 v182, v115 offset:3072
	;; [unrolled: 1-line block ×4, first 2 shown]
	.loc	1 46 27                         ; attention_fwd.py:46:27
	v_perm_b32 v33, v147, v146, v153
	v_perm_b32 v32, v147, v146, v151
	.loc	1 45 20                         ; attention_fwd.py:45:20
	s_waitcnt lgkmcnt(19)
	ds_load_u16_d16_hi v184, v115 offset:3712
	ds_load_u16 v200, v115 offset:3616
	ds_load_u16 v181, v115 offset:2816
	;; [unrolled: 1-line block ×3, first 2 shown]
	s_waitcnt lgkmcnt(19)
	ds_load_u16_d16_hi v170, v115 offset:4288
	ds_load_u16 v154, v115 offset:4192
	s_waitcnt lgkmcnt(20)
	ds_load_u16_d16_hi v193, v115 offset:4064
	s_waitcnt lgkmcnt(20)
	ds_load_u16_d16_hi v104, v115 offset:4224
	ds_load_u16 v162, v115 offset:4128
	s_waitcnt lgkmcnt(20)
	ds_load_u16_d16_hi v201, v115 offset:4000
	ds_load_u16 v180, v115 offset:2560
	ds_load_u16 v179, v115 offset:2304
	;; [unrolled: 1-line block ×4, first 2 shown]
	s_waitcnt lgkmcnt(21)
	ds_load_u16_d16_hi v183, v115 offset:3456
	ds_load_u16 v199, v115 offset:3360
	ds_load_u16 v101, v115 offset:3392
	;; [unrolled: 1-line block ×3, first 2 shown]
	s_waitcnt lgkmcnt(20)
	ds_load_u16_d16_hi v182, v115 offset:3200
	ds_load_u16 v198, v115 offset:3104
	s_waitcnt lgkmcnt(21)
	ds_load_u16_d16_hi v103, v115 offset:4032
	s_waitcnt lgkmcnt(21)
	ds_load_u16_d16_hi v192, v115 offset:3808
	;; [unrolled: 2-line block ×3, first 2 shown]
	ds_load_u16 v209, v115 offset:1792
	ds_load_u16 v100, v115 offset:3136
	ds_load_u16 v189, v115 offset:2912
	s_waitcnt lgkmcnt(23)
	ds_load_u16_d16_hi v181, v115 offset:2944
	ds_load_u16 v197, v115 offset:2848
	ds_load_u16 v99, v115 offset:2880
	ds_load_u16 v188, v115 offset:2656
	s_waitcnt lgkmcnt(19)
	ds_load_u16_d16_hi v180, v115 offset:2688
	;; [unrolled: 5-line block ×3, first 2 shown]
	ds_load_u16 v195, v115 offset:2336
	s_waitcnt lgkmcnt(23)
	ds_load_u16_d16_hi v102, v115 offset:3776
	s_waitcnt lgkmcnt(23)
	ds_load_u16_d16_hi v191, v115 offset:3552
	;; [unrolled: 2-line block ×6, first 2 shown]
	ds_load_u16 v217, v115 offset:1888
	ds_load_u16 v178, v115 offset:2048
	s_waitcnt lgkmcnt(20)
	ds_load_u16_d16_hi v209, v115 offset:1920
	ds_load_u16 v225, v115 offset:1824
	s_waitcnt lgkmcnt(21)
	ds_load_u16_d16_hi v100, v115 offset:3264
	s_waitcnt lgkmcnt(21)
	ds_load_u16_d16_hi v189, v115 offset:3040
	s_waitcnt lgkmcnt(20)
	ds_load_u16_d16_hi v197, v115 offset:2976
	ds_load_u16 v208, v115 offset:1536
	s_waitcnt lgkmcnt(21)
	ds_load_u16_d16_hi v99, v115 offset:3008
	s_waitcnt lgkmcnt(21)
	ds_load_u16_d16_hi v188, v115 offset:2784
	;; [unrolled: 7-line block ×3, first 2 shown]
	s_waitcnt lgkmcnt(20)
	ds_load_u16_d16_hi v195, v115 offset:2464
	ds_load_u16 v206, v115 offset:1024
	ds_load_u16 v205, v115 offset:768
	ds_load_u16 v97, v115 offset:2368
	ds_load_u16_d16_hi v96, v115 offset:2240
	ds_load_u16 v186, v115 offset:2144
	s_waitcnt lgkmcnt(19)
	ds_load_u16_d16_hi v217, v115 offset:2016
	s_waitcnt lgkmcnt(19)
	ds_load_u16_d16_hi v178, v115 offset:2176
	ds_load_u16 v194, v115 offset:2080
	s_waitcnt lgkmcnt(19)
	ds_load_u16_d16_hi v225, v115 offset:1952
	ds_load_u16 v204, v115 offset:512
	ds_load_u16 v235, v115 offset:1856
	ds_load_u16 v216, v115 offset:1632
	s_waitcnt lgkmcnt(19)
	ds_load_u16_d16_hi v208, v115 offset:1664
	ds_load_u16 v224, v115 offset:1568
	ds_load_u16 v234, v115 offset:1600
	;; [unrolled: 5-line block ×3, first 2 shown]
	ds_load_u16 v233, v115 offset:1344
	ds_load_u16 v214, v115 offset:1120
	s_waitcnt lgkmcnt(20)
	ds_load_u16_d16_hi v206, v115 offset:1152
	ds_load_u16 v222, v115 offset:1056
	ds_load_u16 v232, v115 offset:1088
	ds_load_u16 v213, v115 offset:864
	s_waitcnt lgkmcnt(23)
	ds_load_u16_d16_hi v205, v115 offset:896
	ds_load_u16 v221, v115 offset:800
	;; [unrolled: 5-line block ×3, first 2 shown]
	ds_load_u16 v229, v115 offset:320
	ds_load_u16 v210, v115 offset:96
	;; [unrolled: 1-line block ×4, first 2 shown]
	ds_load_u16 v202, v115
	ds_load_u16 v218, v115 offset:32
	s_waitcnt lgkmcnt(26)
	ds_load_u16_d16_hi v235, v115 offset:1984
	s_waitcnt lgkmcnt(26)
	ds_load_u16_d16_hi v216, v115 offset:1760
	;; [unrolled: 2-line block ×3, first 2 shown]
	ds_load_u16 v211, v115 offset:352
	s_waitcnt lgkmcnt(22)
	ds_load_u16_d16_hi v203, v115 offset:384
	ds_load_u16 v219, v115 offset:288
	ds_load_u16_d16_hi v234, v115 offset:1728
	ds_load_u16_d16_hi v215, v115 offset:1504
	;; [unrolled: 1-line block ×3, first 2 shown]
	s_waitcnt lgkmcnt(26)
	ds_load_u16_d16_hi v233, v115 offset:1472
	s_waitcnt lgkmcnt(26)
	ds_load_u16_d16_hi v214, v115 offset:1248
	s_waitcnt lgkmcnt(25)
	ds_load_u16_d16_hi v222, v115 offset:1184
	s_waitcnt lgkmcnt(25)
	ds_load_u16_d16_hi v232, v115 offset:1216
	s_waitcnt lgkmcnt(25)
	ds_load_u16_d16_hi v213, v115 offset:992
	s_waitcnt lgkmcnt(24)
	ds_load_u16_d16_hi v221, v115 offset:928
	s_waitcnt lgkmcnt(24)
	ds_load_u16_d16_hi v231, v115 offset:960
	s_waitcnt lgkmcnt(24)
	ds_load_u16_d16_hi v212, v115 offset:736
	s_waitcnt lgkmcnt(23)
	ds_load_u16_d16_hi v220, v115 offset:672
	s_waitcnt lgkmcnt(22)
	ds_load_u16_d16_hi v210, v115 offset:224
	ds_load_u16_d16_hi v229, v115 offset:448
	s_waitcnt lgkmcnt(22)
	ds_load_u16_d16_hi v228, v115 offset:192
	s_waitcnt lgkmcnt(21)
	ds_load_u16_d16_hi v218, v115 offset:160
	ds_load_u16_d16_hi v202, v115 offset:128
	;; [unrolled: 1-line block ×3, first 2 shown]
	s_waitcnt lgkmcnt(20)
	ds_load_u16_d16_hi v211, v115 offset:480
	s_waitcnt lgkmcnt(19)
	ds_load_u16_d16_hi v219, v115 offset:416
	ds_load_u16_d16_hi v97, v115 offset:2496
	;; [unrolled: 1-line block ×16, first 2 shown]
	.loc	1 46 37                         ; attention_fwd.py:46:37
	s_waitcnt lgkmcnt(18)
	v_wmma_f32_16x16x16_bf16 v[0:7], v[202:209], v[88:95], v[0:7]
	s_delay_alu instid0(VALU_DEP_1)
	v_wmma_f32_16x16x16_bf16 v[0:7], v[178:185], v[48:55], v[0:7]
	s_waitcnt lgkmcnt(15)
	v_wmma_f32_16x16x16_bf16 v[8:15], v[218:225], v[88:95], v[8:15]
	v_wmma_f32_16x16x16_bf16 v[16:23], v[228:235], v[88:95], v[16:23]
	v_wmma_f32_16x16x16_bf16 v[24:31], v[210:217], v[88:95], v[24:31]
	v_wmma_f32_16x16x16_bf16 v[0:7], v[104:111], v[40:47], v[0:7]
	s_waitcnt lgkmcnt(12)
	v_wmma_f32_16x16x16_bf16 v[8:15], v[194:201], v[48:55], v[8:15]
	v_wmma_f32_16x16x16_bf16 v[16:23], v[96:103], v[48:55], v[16:23]
	v_wmma_f32_16x16x16_bf16 v[24:31], v[186:193], v[48:55], v[24:31]
	;; [unrolled: 5-line block ×3, first 2 shown]
	s_waitcnt lgkmcnt(0)
	s_delay_alu instid0(VALU_DEP_3) | instskip(NEXT) | instid1(VALU_DEP_3)
	v_wmma_f32_16x16x16_bf16 v[8:15], v[72:79], v[32:39], v[8:15]
	v_wmma_f32_16x16x16_bf16 v[16:23], v[80:87], v[32:39], v[16:23]
	s_delay_alu instid0(VALU_DEP_3)
	v_wmma_f32_16x16x16_bf16 v[24:31], v[64:71], v[32:39], v[24:31]
	.loc	1 50 23                         ; attention_fwd.py:50:23
	s_mov_b32 s0, exec_lo
	.loc	1 21 47                         ; attention_fwd.py:21:47
	v_cmpx_gt_i32_e64 s100, v114
	s_cbranch_execz .LBB0_329
.LBB0_331:                              ; %.critedge
	.loc	1 0 47 is_stmt 0                ; attention_fwd.py:0:47
	s_delay_alu instid0(VALU_DEP_2) | instskip(SKIP_2) | instid1(VALU_DEP_3)
	.loc	1 48 16 is_stmt 1               ; attention_fwd.py:48:16
	v_div_scale_f32 v32, null, v227, v227, v31
	v_div_scale_f32 v33, null, v227, v227, v30
	;; [unrolled: 1-line block ×3, first 2 shown]
	v_rcp_f32_e32 v34, v32
	s_delay_alu instid0(VALU_DEP_2) | instskip(SKIP_1) | instid1(VALU_DEP_2)
	v_rcp_f32_e32 v35, v33
	v_div_scale_f32 v38, null, v227, v227, v28
	v_rcp_f32_e32 v39, v36
	v_div_scale_f32 v37, vcc_lo, v31, v227, v31
	s_delay_alu instid0(VALU_DEP_2) | instskip(SKIP_2) | instid1(TRANS32_DEP_3)
	v_rcp_f32_e32 v43, v38
	v_div_scale_f32 v42, s0, v30, v227, v30
	v_fma_f32 v40, -v32, v34, 1.0
	v_fma_f32 v41, -v33, v35, 1.0
	v_div_scale_f32 v45, s1, v29, v227, v29
	v_div_scale_f32 v48, s2, v28, v227, v28
	s_delay_alu instid0(VALU_DEP_3) | instskip(NEXT) | instid1(TRANS32_DEP_2)
	v_dual_fmac_f32 v34, v40, v34 :: v_dual_fmac_f32 v35, v41, v35
	v_fma_f32 v40, -v36, v39, 1.0
	s_delay_alu instid0(TRANS32_DEP_1) | instskip(SKIP_1) | instid1(VALU_DEP_4)
	v_fma_f32 v46, -v38, v43, 1.0
	v_div_scale_f32 v88, null, v227, v227, v1
	v_dual_mul_f32 v41, v37, v34 :: v_dual_mul_f32 v44, v42, v35
	s_delay_alu instid0(VALU_DEP_4) | instskip(NEXT) | instid1(VALU_DEP_4)
	v_fmac_f32_e32 v39, v40, v39
	v_fmac_f32_e32 v43, v46, v43
	s_delay_alu instid0(VALU_DEP_4) | instskip(NEXT) | instid1(VALU_DEP_3)
	v_rcp_f32_e32 v89, v88
	v_fma_f32 v40, -v32, v41, v37
	v_fma_f32 v47, -v33, v44, v42
	v_mul_f32_e32 v46, v45, v39
	.loc	1 49 69                         ; attention_fwd.py:49:69
	v_mul_lo_u32 v50, s65, v135
	v_mul_lo_u32 v52, s65, v134
	.loc	1 48 16                         ; attention_fwd.py:48:16
	v_fmac_f32_e32 v41, v40, v34
	v_div_scale_f32 v40, null, v227, v227, v27
	v_fma_f32 v49, -v36, v46, v45
	s_delay_alu instid0(TRANS32_DEP_1) | instskip(NEXT) | instid1(VALU_DEP_4)
	v_fma_f32 v82, -v88, v89, 1.0
	v_fma_f32 v32, -v32, v41, v37
	s_delay_alu instid0(VALU_DEP_4)
	v_rcp_f32_e32 v37, v40
	.loc	1 49 69                         ; attention_fwd.py:49:69
	v_mul_lo_u32 v54, s65, v133
	v_mul_lo_u32 v56, s65, v132
	.loc	1 49 51 is_stmt 0               ; attention_fwd.py:49:51
	v_ashrrev_i32_e32 v51, 31, v50
	.loc	1 48 16 is_stmt 1               ; attention_fwd.py:48:16
	v_div_fmas_f32 v32, v32, v34, v41
	s_mov_b32 vcc_lo, s0
	.loc	1 49 69                         ; attention_fwd.py:49:69
	v_mul_lo_u32 v58, s65, v131
	.loc	1 49 51 is_stmt 0               ; attention_fwd.py:49:51
	v_ashrrev_i32_e32 v53, 31, v52
	.loc	1 49 69                         ; attention_fwd.py:49:69
	v_mul_lo_u32 v60, s65, v130
	.loc	1 48 16 is_stmt 1               ; attention_fwd.py:48:16
	v_div_fixup_f32 v31, v32, v227, v31
	v_fma_f32 v32, -v40, v37, 1.0
	v_fmac_f32_e32 v44, v47, v35
	v_mul_f32_e32 v47, v48, v43
	.loc	1 49 51                         ; attention_fwd.py:49:51
	v_ashrrev_i32_e32 v55, 31, v54
	.loc	1 49 69 is_stmt 0               ; attention_fwd.py:49:69
	v_mul_lo_u32 v62, s65, v129
	.loc	1 48 16 is_stmt 1               ; attention_fwd.py:48:16
	v_fmac_f32_e32 v37, v32, v37
	v_fma_f32 v33, -v33, v44, v42
	v_div_scale_f32 v42, s3, v27, v227, v27
	v_fmac_f32_e32 v46, v49, v39
	v_fma_f32 v34, -v38, v47, v48
	s_delay_alu instid0(VALU_DEP_4)
	v_div_fmas_f32 v33, v33, v35, v44
	s_mov_b32 vcc_lo, s1
	.loc	1 49 51                         ; attention_fwd.py:49:51
	v_lshlrev_b64 v[50:51], 1, v[50:51]
	.loc	1 48 16                         ; attention_fwd.py:48:16
	v_fma_f32 v35, -v36, v46, v45
	v_div_scale_f32 v36, null, v227, v227, v26
	v_div_fixup_f32 v30, v33, v227, v30
	.loc	1 50 30                         ; attention_fwd.py:50:30
	v_bfe_u32 v33, v31, 16, 1
	s_delay_alu instid0(VALU_DEP_4)
	.loc	1 48 16                         ; attention_fwd.py:48:16
	v_div_fmas_f32 v35, v35, v39, v46
	s_mov_b32 vcc_lo, s2
	.loc	1 49 51                         ; attention_fwd.py:49:51
	v_ashrrev_i32_e32 v57, 31, v56
	.loc	1 50 30                         ; attention_fwd.py:50:30
	v_bfe_u32 v39, v30, 16, 1
	v_add3_u32 v33, v31, v33, 0x7fff
	.loc	1 48 16                         ; attention_fwd.py:48:16
	v_div_fixup_f32 v32, v35, v227, v29
	v_mul_f32_e32 v35, v42, v37
	.loc	1 49 69                         ; attention_fwd.py:49:69
	v_mul_lo_u32 v64, s65, v128
	.loc	1 49 51 is_stmt 0               ; attention_fwd.py:49:51
	v_lshlrev_b64 v[52:53], 1, v[52:53]
	.loc	1 50 30 is_stmt 1               ; attention_fwd.py:50:30
	v_lshrrev_b32_e32 v29, 16, v33
	.loc	1 49 51                         ; attention_fwd.py:49:51
	v_ashrrev_i32_e32 v59, 31, v58
	.loc	1 48 16                         ; attention_fwd.py:48:16
	v_fma_f32 v41, -v40, v35, v42
	.loc	1 49 69                         ; attention_fwd.py:49:69
	v_mul_lo_u32 v66, s65, v127
	.loc	1 49 51 is_stmt 0               ; attention_fwd.py:49:51
	v_lshlrev_b64 v[54:55], 1, v[54:55]
	v_ashrrev_i32_e32 v61, 31, v60
	.loc	1 49 69                         ; attention_fwd.py:49:69
	v_mul_lo_u32 v68, s65, v126
	.loc	1 48 16 is_stmt 1               ; attention_fwd.py:48:16
	v_fmac_f32_e32 v35, v41, v37
	v_div_scale_f32 v41, null, v227, v227, v25
	.loc	1 49 51                         ; attention_fwd.py:49:51
	v_lshlrev_b64 v[56:57], 1, v[56:57]
	v_ashrrev_i32_e32 v63, 31, v62
	s_delay_alu instid0(VALU_DEP_4) | instskip(NEXT) | instid1(VALU_DEP_4)
	.loc	1 48 16                         ; attention_fwd.py:48:16
	v_fma_f32 v40, -v40, v35, v42
	v_rcp_f32_e32 v42, v41
	v_fmac_f32_e32 v47, v34, v43
	.loc	1 50 30                         ; attention_fwd.py:50:30
	v_add3_u32 v34, v30, v39, 0x7fff
	v_bfe_u32 v39, v32, 16, 1
	.loc	1 49 69                         ; attention_fwd.py:49:69
	v_mul_lo_u32 v70, s65, v125
	.loc	1 49 51 is_stmt 0               ; attention_fwd.py:49:51
	v_lshlrev_b64 v[58:59], 1, v[58:59]
	.loc	1 48 16 is_stmt 1               ; attention_fwd.py:48:16
	v_fma_f32 v33, -v38, v47, v48
	v_rcp_f32_e32 v38, v36
	.loc	1 49 51                         ; attention_fwd.py:49:51
	v_ashrrev_i32_e32 v65, 31, v64
	.loc	1 49 69 is_stmt 0               ; attention_fwd.py:49:69
	v_mul_lo_u32 v72, s65, v124
	.loc	1 49 51                         ; attention_fwd.py:49:51
	v_lshlrev_b64 v[60:61], 1, v[60:61]
	.loc	1 48 16 is_stmt 1               ; attention_fwd.py:48:16
	v_div_fmas_f32 v33, v33, v43, v47
	.loc	1 50 30                         ; attention_fwd.py:50:30
	v_cmp_o_f32_e32 vcc_lo, v31, v31
	.loc	1 49 51                         ; attention_fwd.py:49:51
	v_ashrrev_i32_e32 v67, 31, v66
	.loc	1 49 69 is_stmt 0               ; attention_fwd.py:49:69
	v_mul_lo_u32 v74, s65, v123
	.loc	1 49 51                         ; attention_fwd.py:49:51
	v_lshlrev_b64 v[62:63], 1, v[62:63]
	.loc	1 48 16 is_stmt 1               ; attention_fwd.py:48:16
	v_div_fixup_f32 v31, v33, v227, v28
	.loc	1 50 30                         ; attention_fwd.py:50:30
	v_lshrrev_b32_e32 v28, 16, v34
	.loc	1 48 16                         ; attention_fwd.py:48:16
	v_fma_f32 v34, -v36, v38, 1.0
	.loc	1 50 30                         ; attention_fwd.py:50:30
	v_cndmask_b32_e32 v29, 0x7fff, v29, vcc_lo
	.loc	1 48 16                         ; attention_fwd.py:48:16
	s_mov_b32 vcc_lo, s3
	.loc	1 50 30                         ; attention_fwd.py:50:30
	v_add3_u32 v33, v32, v39, 0x7fff
	v_bfe_u32 v39, v31, 16, 1
	.loc	1 48 16                         ; attention_fwd.py:48:16
	v_fmac_f32_e32 v38, v34, v38
	v_div_scale_f32 v34, s0, v26, v227, v26
	v_div_fmas_f32 v35, v40, v37, v35
	.loc	1 50 30                         ; attention_fwd.py:50:30
	v_cmp_o_f32_e32 vcc_lo, v30, v30
	v_lshrrev_b32_e32 v30, 16, v33
	s_delay_alu instid0(VALU_DEP_4)
	.loc	1 48 16                         ; attention_fwd.py:48:16
	v_mul_f32_e32 v37, v34, v38
	.loc	1 50 30                         ; attention_fwd.py:50:30
	v_add3_u32 v33, v31, v39, 0x7fff
	.loc	1 48 16                         ; attention_fwd.py:48:16
	v_div_fixup_f32 v35, v35, v227, v27
	.loc	1 50 30                         ; attention_fwd.py:50:30
	v_cndmask_b32_e32 v28, 0x7fff, v28, vcc_lo
	.loc	1 48 16                         ; attention_fwd.py:48:16
	v_fma_f32 v40, -v41, v42, 1.0
	v_fma_f32 v39, -v36, v37, v34
	.loc	1 50 30                         ; attention_fwd.py:50:30
	v_cmp_o_f32_e32 vcc_lo, v32, v32
	v_bfe_u32 v32, v35, 16, 1
	.loc	1 48 16                         ; attention_fwd.py:48:16
	v_div_scale_f32 v86, null, v227, v227, v0
	s_delay_alu instid0(VALU_DEP_4)
	v_fmac_f32_e32 v37, v39, v38
	.loc	1 50 30                         ; attention_fwd.py:50:30
	v_cndmask_b32_e32 v27, 0x7fff, v30, vcc_lo
	v_lshrrev_b32_e32 v30, 16, v33
	.loc	1 48 16                         ; attention_fwd.py:48:16
	v_fmac_f32_e32 v42, v40, v42
	v_div_scale_f32 v33, s1, v25, v227, v25
	v_fma_f32 v34, -v36, v37, v34
	v_div_scale_f32 v36, null, v227, v227, v24
	s_mov_b32 vcc_lo, s0
	.loc	1 50 30                         ; attention_fwd.py:50:30
	v_add3_u32 v32, v35, v32, 0x7fff
	.loc	1 48 16                         ; attention_fwd.py:48:16
	v_mul_f32_e32 v39, v33, v42
	v_div_fmas_f32 v34, v34, v38, v37
	v_rcp_f32_e32 v37, v36
	v_div_scale_f32 v40, null, v227, v227, v23
	s_delay_alu instid0(VALU_DEP_3)
	v_fma_f32 v38, -v41, v39, v33
	.loc	1 50 30                         ; attention_fwd.py:50:30
	v_cmp_o_f32_e32 vcc_lo, v31, v31
	v_lshrrev_b32_e32 v31, 16, v32
	.loc	1 48 16                         ; attention_fwd.py:48:16
	v_div_fixup_f32 v32, v34, v227, v26
	v_rcp_f32_e32 v34, v40
	v_fmac_f32_e32 v39, v38, v42
	.loc	1 50 30                         ; attention_fwd.py:50:30
	v_cndmask_b32_e32 v30, 0x7fff, v30, vcc_lo
	s_delay_alu instid0(TRANS32_DEP_2) | instskip(SKIP_3) | instid1(VALU_DEP_4)
	.loc	1 48 16                         ; attention_fwd.py:48:16
	v_fma_f32 v38, -v36, v37, 1.0
	.loc	1 50 30                         ; attention_fwd.py:50:30
	v_cmp_o_f32_e32 vcc_lo, v35, v35
	.loc	1 48 16                         ; attention_fwd.py:48:16
	v_div_scale_f32 v35, s0, v24, v227, v24
	v_fma_f32 v33, -v41, v39, v33
	v_dual_fmac_f32 v37, v38, v37 :: v_dual_cndmask_b32 v26, 0x7fff, v31
	s_delay_alu instid0(TRANS32_DEP_1) | instskip(SKIP_3) | instid1(VALU_DEP_3)
	v_fma_f32 v38, -v40, v34, 1.0
	s_mov_b32 vcc_lo, s1
	v_div_scale_f32 v41, null, v227, v227, v22
	v_div_fmas_f32 v33, v33, v42, v39
	v_fmac_f32_e32 v34, v38, v34
	v_div_scale_f32 v38, s1, v23, v227, v23
	.loc	1 50 30                         ; attention_fwd.py:50:30
	v_bfe_u32 v31, v32, 16, 1
	s_delay_alu instid0(VALU_DEP_4) | instskip(SKIP_1) | instid1(VALU_DEP_3)
	.loc	1 48 16                         ; attention_fwd.py:48:16
	v_div_fixup_f32 v33, v33, v227, v25
	v_rcp_f32_e32 v43, v41
	v_mul_f32_e32 v42, v38, v34
	.loc	1 50 30                         ; attention_fwd.py:50:30
	v_cmp_o_f32_e32 vcc_lo, v32, v32
	v_add3_u32 v31, v32, v31, 0x7fff
	v_bfe_u32 v44, v33, 16, 1
	.loc	1 49 51                         ; attention_fwd.py:49:51
	v_ashrrev_i32_e32 v69, 31, v68
	.loc	1 48 16                         ; attention_fwd.py:48:16
	v_fma_f32 v45, -v40, v42, v38
	.loc	1 49 51                         ; attention_fwd.py:49:51
	v_lshlrev_b64 v[64:65], 1, v[64:65]
	.loc	1 50 30                         ; attention_fwd.py:50:30
	v_lshrrev_b32_e32 v31, 16, v31
	.loc	1 49 51                         ; attention_fwd.py:49:51
	v_ashrrev_i32_e32 v71, 31, v70
	v_lshlrev_b64 v[66:67], 1, v[66:67]
	.loc	1 48 16                         ; attention_fwd.py:48:16
	v_dual_fmac_f32 v42, v45, v34 :: v_dual_mul_f32 v39, v35, v37
	.loc	1 49 51                         ; attention_fwd.py:49:51
	v_ashrrev_i32_e32 v73, 31, v72
	.loc	1 48 16                         ; attention_fwd.py:48:16
	v_rcp_f32_e32 v87, v86
	.loc	1 49 51                         ; attention_fwd.py:49:51
	v_lshlrev_b64 v[68:69], 1, v[68:69]
	v_ashrrev_i32_e32 v75, 31, v74
	.loc	1 48 16                         ; attention_fwd.py:48:16
	v_fma_f32 v25, -v36, v39, v35
	.loc	1 49 51                         ; attention_fwd.py:49:51
	v_lshlrev_b64 v[70:71], 1, v[70:71]
	v_lshlrev_b64 v[72:73], 1, v[72:73]
	.loc	1 49 69 is_stmt 0               ; attention_fwd.py:49:69
	v_mul_lo_u32 v80, s65, v120
	.loc	1 49 51                         ; attention_fwd.py:49:51
	v_lshlrev_b64 v[74:75], 1, v[74:75]
	.loc	1 48 16 is_stmt 1               ; attention_fwd.py:48:16
	v_fmac_f32_e32 v39, v25, v37
	.loc	1 50 30                         ; attention_fwd.py:50:30
	v_cndmask_b32_e32 v25, 0x7fff, v31, vcc_lo
	.loc	1 48 16                         ; attention_fwd.py:48:16
	s_mov_b32 vcc_lo, s0
	.loc	1 50 30                         ; attention_fwd.py:50:30
	v_add3_u32 v31, v33, v44, 0x7fff
	.loc	1 48 16                         ; attention_fwd.py:48:16
	v_fma_f32 v81, -v86, v87, 1.0
	v_fma_f32 v32, -v36, v39, v35
	v_fma_f32 v35, -v41, v43, 1.0
	v_div_scale_f32 v36, null, v227, v227, v21
	.loc	1 50 30                         ; attention_fwd.py:50:30
	v_lshrrev_b32_e32 v31, 16, v31
	s_delay_alu instid0(VALU_DEP_4)
	.loc	1 48 16                         ; attention_fwd.py:48:16
	v_div_fmas_f32 v32, v32, v37, v39
	v_fma_f32 v37, -v40, v42, v38
	v_fmac_f32_e32 v43, v35, v43
	v_rcp_f32_e32 v35, v36
	v_div_scale_f32 v38, s0, v22, v227, v22
	s_mov_b32 vcc_lo, s1
	v_div_fixup_f32 v24, v32, v227, v24
	v_div_fmas_f32 v32, v37, v34, v42
	v_mul_f32_e32 v34, v38, v43
	v_div_scale_f32 v40, null, v227, v227, v20
	s_delay_alu instid0(VALU_DEP_4) | instskip(NEXT) | instid1(TRANS32_DEP_1)
	.loc	1 50 30                         ; attention_fwd.py:50:30
	v_bfe_u32 v37, v24, 16, 1
	.loc	1 48 16                         ; attention_fwd.py:48:16
	v_fma_f32 v39, -v36, v35, 1.0
	v_div_fixup_f32 v32, v32, v227, v23
	v_fma_f32 v23, -v41, v34, v38
	v_rcp_f32_e32 v42, v40
	.loc	1 50 30                         ; attention_fwd.py:50:30
	v_add3_u32 v37, v24, v37, 0x7fff
	.loc	1 48 16                         ; attention_fwd.py:48:16
	v_fmac_f32_e32 v35, v39, v35
	v_div_scale_f32 v39, s1, v21, v227, v21
	v_fmac_f32_e32 v34, v23, v43
	.loc	1 50 30                         ; attention_fwd.py:50:30
	v_cmp_o_f32_e32 vcc_lo, v33, v33
	v_bfe_u32 v44, v32, 16, 1
	s_delay_alu instid0(VALU_DEP_4)
	.loc	1 48 16                         ; attention_fwd.py:48:16
	v_mul_f32_e32 v45, v39, v35
	v_fmac_f32_e32 v87, v81, v87
	.loc	1 49 69                         ; attention_fwd.py:49:69
	v_mul_lo_u32 v84, s65, v118
	.loc	1 50 30                         ; attention_fwd.py:50:30
	v_cndmask_b32_e32 v23, 0x7fff, v31, vcc_lo
	v_lshrrev_b32_e32 v31, 16, v37
	.loc	1 48 16                         ; attention_fwd.py:48:16
	v_fma_f32 v37, -v41, v34, v38
	s_mov_b32 vcc_lo, s0
	v_fma_f32 v38, -v36, v45, v39
	v_fma_f32 v41, -v40, v42, 1.0
	.loc	1 50 30                         ; attention_fwd.py:50:30
	v_add3_u32 v33, v32, v44, 0x7fff
	.loc	1 48 16                         ; attention_fwd.py:48:16
	v_div_fmas_f32 v34, v37, v43, v34
	v_div_scale_f32 v37, null, v227, v227, v19
	s_delay_alu instid0(VALU_DEP_4) | instskip(SKIP_1) | instid1(VALU_DEP_3)
	v_dual_fmac_f32 v45, v38, v35 :: v_dual_fmac_f32 v42, v41, v42
	v_div_scale_f32 v38, s0, v20, v227, v20
	v_rcp_f32_e32 v41, v37
	.loc	1 50 30                         ; attention_fwd.py:50:30
	v_cmp_o_f32_e32 vcc_lo, v24, v24
	.loc	1 48 16                         ; attention_fwd.py:48:16
	v_div_fixup_f32 v34, v34, v227, v22
	.loc	1 49 51                         ; attention_fwd.py:49:51
	v_ashrrev_i32_e32 v81, 31, v80
	.loc	1 49 69 is_stmt 0               ; attention_fwd.py:49:69
	v_mul_lo_u32 v76, s65, v122
	v_mul_lo_u32 v78, s65, v121
	.loc	1 50 30 is_stmt 1               ; attention_fwd.py:50:30
	v_cndmask_b32_e32 v24, 0x7fff, v31, vcc_lo
	v_lshrrev_b32_e32 v31, 16, v33
	.loc	1 48 16                         ; attention_fwd.py:48:16
	v_fma_f32 v33, -v36, v45, v39
	v_mul_f32_e32 v36, v38, v42
	s_mov_b32 vcc_lo, s1
	v_fma_f32 v39, -v37, v41, 1.0
	.loc	1 49 51                         ; attention_fwd.py:49:51
	v_lshlrev_b64 v[80:81], 1, v[80:81]
	.loc	1 48 16                         ; attention_fwd.py:48:16
	v_div_fmas_f32 v33, v33, v35, v45
	v_fma_f32 v35, -v40, v36, v38
	.loc	1 50 30                         ; attention_fwd.py:50:30
	v_cmp_o_f32_e32 vcc_lo, v32, v32
	.loc	1 48 16                         ; attention_fwd.py:48:16
	v_fmac_f32_e32 v41, v39, v41
	v_div_scale_f32 v32, s1, v19, v227, v19
	s_delay_alu instid0(VALU_DEP_4) | instskip(SKIP_2) | instid1(VALU_DEP_4)
	v_fmac_f32_e32 v36, v35, v42
	v_div_fixup_f32 v21, v33, v227, v21
	v_div_scale_f32 v33, null, v227, v227, v18
	v_mul_f32_e32 v39, v32, v41
	s_delay_alu instid0(VALU_DEP_4)
	v_fma_f32 v38, -v40, v36, v38
	.loc	1 50 30                         ; attention_fwd.py:50:30
	v_cndmask_b32_e32 v22, 0x7fff, v31, vcc_lo
	.loc	1 48 16                         ; attention_fwd.py:48:16
	s_mov_b32 vcc_lo, s0
	.loc	1 50 30                         ; attention_fwd.py:50:30
	v_bfe_u32 v31, v34, 16, 1
	.loc	1 48 16                         ; attention_fwd.py:48:16
	v_rcp_f32_e32 v40, v33
	v_div_fmas_f32 v36, v38, v42, v36
	v_fma_f32 v38, -v37, v39, v32
	v_div_scale_f32 v42, null, v227, v227, v17
	.loc	1 50 30                         ; attention_fwd.py:50:30
	v_add3_u32 v31, v34, v31, 0x7fff
	v_bfe_u32 v35, v21, 16, 1
	s_delay_alu instid0(VALU_DEP_4) | instskip(NEXT) | instid1(VALU_DEP_4)
	.loc	1 48 16                         ; attention_fwd.py:48:16
	v_fmac_f32_e32 v39, v38, v41
	v_rcp_f32_e32 v38, v42
	.loc	1 50 30                         ; attention_fwd.py:50:30
	v_cmp_o_f32_e32 vcc_lo, v34, v34
	v_lshrrev_b32_e32 v31, 16, v31
	v_add3_u32 v35, v21, v35, 0x7fff
	.loc	1 48 16                         ; attention_fwd.py:48:16
	v_fma_f32 v43, -v33, v40, 1.0
	v_div_fixup_f32 v36, v36, v227, v20
	v_fma_f32 v32, -v37, v39, v32
	.loc	1 50 30                         ; attention_fwd.py:50:30
	v_cndmask_b32_e32 v20, 0x7fff, v31, vcc_lo
	v_lshrrev_b32_e32 v31, 16, v35
	.loc	1 48 16                         ; attention_fwd.py:48:16
	v_fmac_f32_e32 v40, v43, v40
	v_div_scale_f32 v35, s0, v18, v227, v18
	v_fma_f32 v37, -v42, v38, 1.0
	s_mov_b32 vcc_lo, s1
	.loc	1 50 30                         ; attention_fwd.py:50:30
	v_bfe_u32 v34, v36, 16, 1
	.loc	1 48 16                         ; attention_fwd.py:48:16
	v_div_fmas_f32 v32, v32, v41, v39
	v_mul_f32_e32 v39, v35, v40
	v_div_scale_f32 v41, null, v227, v227, v16
	v_fmac_f32_e32 v38, v37, v38
	v_div_scale_f32 v37, s1, v17, v227, v17
	.loc	1 50 30                         ; attention_fwd.py:50:30
	v_add3_u32 v34, v36, v34, 0x7fff
	s_delay_alu instid0(VALU_DEP_4) | instskip(SKIP_1) | instid1(VALU_DEP_3)
	.loc	1 48 16                         ; attention_fwd.py:48:16
	v_rcp_f32_e32 v43, v41
	v_fma_f32 v44, -v33, v39, v35
	v_mul_f32_e32 v45, v37, v38
	.loc	1 50 30                         ; attention_fwd.py:50:30
	v_cmp_o_f32_e32 vcc_lo, v21, v21
	v_lshrrev_b32_e32 v21, 16, v34
	.loc	1 48 16                         ; attention_fwd.py:48:16
	v_div_fixup_f32 v32, v32, v227, v19
	v_fmac_f32_e32 v39, v44, v40
	v_fma_f32 v34, -v42, v45, v37
	.loc	1 50 30                         ; attention_fwd.py:50:30
	v_cndmask_b32_e32 v19, 0x7fff, v31, vcc_lo
	v_cmp_o_f32_e32 vcc_lo, v36, v36
	.loc	1 48 16                         ; attention_fwd.py:48:16
	v_fma_f32 v44, -v41, v43, 1.0
	v_fma_f32 v33, -v33, v39, v35
	v_fmac_f32_e32 v45, v34, v38
	v_div_scale_f32 v35, null, v227, v227, v15
	s_delay_alu instid0(VALU_DEP_4) | instskip(SKIP_1) | instid1(VALU_DEP_4)
	v_fmac_f32_e32 v43, v44, v43
	v_div_scale_f32 v34, s2, v16, v227, v16
	v_fma_f32 v36, -v42, v45, v37
	s_delay_alu instid0(VALU_DEP_4)
	v_rcp_f32_e32 v37, v35
	.loc	1 50 30                         ; attention_fwd.py:50:30
	v_cndmask_b32_e32 v21, 0x7fff, v21, vcc_lo
	.loc	1 48 16                         ; attention_fwd.py:48:16
	s_mov_b32 vcc_lo, s0
	.loc	1 50 30                         ; attention_fwd.py:50:30
	v_bfe_u32 v31, v32, 16, 1
	.loc	1 48 16                         ; attention_fwd.py:48:16
	v_div_fmas_f32 v33, v33, v40, v39
	s_mov_b32 vcc_lo, s1
	v_mul_f32_e32 v39, v34, v43
	v_div_fmas_f32 v36, v36, v38, v45
	.loc	1 50 30                         ; attention_fwd.py:50:30
	v_add3_u32 v31, v32, v31, 0x7fff
	v_cmp_o_f32_e32 vcc_lo, v32, v32
	.loc	1 48 16                         ; attention_fwd.py:48:16
	v_fma_f32 v32, -v35, v37, 1.0
	v_fma_f32 v38, -v41, v39, v34
	v_div_fixup_f32 v17, v36, v227, v17
	v_div_scale_f32 v36, null, v227, v227, v14
	s_delay_alu instid0(VALU_DEP_4) | instskip(NEXT) | instid1(VALU_DEP_4)
	v_fmac_f32_e32 v37, v32, v37
	v_fmac_f32_e32 v39, v38, v43
	v_div_scale_f32 v32, s0, v15, v227, v15
	s_delay_alu instid0(VALU_DEP_4) | instskip(SKIP_4) | instid1(VALU_DEP_4)
	v_rcp_f32_e32 v38, v36
	.loc	1 50 30                         ; attention_fwd.py:50:30
	v_lshrrev_b32_e32 v31, 16, v31
	.loc	1 48 16                         ; attention_fwd.py:48:16
	v_div_fixup_f32 v33, v33, v227, v18
	v_fma_f32 v34, -v41, v39, v34
	.loc	1 50 30                         ; attention_fwd.py:50:30
	v_bfe_u32 v40, v17, 16, 1
	.loc	1 48 16                         ; attention_fwd.py:48:16
	v_dual_mul_f32 v41, v32, v37 :: v_dual_cndmask_b32 v18, 0x7fff, v31
	s_delay_alu instid0(VALU_DEP_4)
	.loc	1 50 30                         ; attention_fwd.py:50:30
	v_bfe_u32 v31, v33, 16, 1
	.loc	1 48 16                         ; attention_fwd.py:48:16
	s_mov_b32 vcc_lo, s2
	v_div_scale_f32 v45, s2, v7, v227, v7
	v_div_fmas_f32 v34, v34, v43, v39
	.loc	1 50 30                         ; attention_fwd.py:50:30
	v_add3_u32 v39, v17, v40, 0x7fff
	.loc	1 48 16                         ; attention_fwd.py:48:16
	v_fma_f32 v40, -v35, v41, v32
	v_fma_f32 v42, -v36, v38, 1.0
	v_div_scale_f32 v43, null, v227, v227, v13
	.loc	1 50 30                         ; attention_fwd.py:50:30
	v_add3_u32 v31, v33, v31, 0x7fff
	s_delay_alu instid0(VALU_DEP_3) | instskip(SKIP_1) | instid1(VALU_DEP_4)
	.loc	1 48 16                         ; attention_fwd.py:48:16
	v_dual_fmac_f32 v41, v40, v37 :: v_dual_fmac_f32 v38, v42, v38
	v_div_scale_f32 v40, s1, v14, v227, v14
	v_rcp_f32_e32 v42, v43
	s_delay_alu instid0(VALU_DEP_3)
	.loc	1 50 30                         ; attention_fwd.py:50:30
	v_lshrrev_b32_e32 v31, 16, v31
	v_cmp_o_f32_e32 vcc_lo, v33, v33
	.loc	1 48 16                         ; attention_fwd.py:48:16
	v_div_fixup_f32 v34, v34, v227, v16
	v_fma_f32 v32, -v35, v41, v32
	v_mul_f32_e32 v33, v40, v38
	.loc	1 49 51                         ; attention_fwd.py:49:51
	v_ashrrev_i32_e32 v77, 31, v76
	.loc	1 50 30                         ; attention_fwd.py:50:30
	v_cndmask_b32_e32 v16, 0x7fff, v31, vcc_lo
	.loc	1 48 16                         ; attention_fwd.py:48:16
	s_mov_b32 vcc_lo, s0
	.loc	1 50 30                         ; attention_fwd.py:50:30
	v_lshrrev_b32_e32 v31, 16, v39
	v_bfe_u32 v35, v34, 16, 1
	.loc	1 48 16                         ; attention_fwd.py:48:16
	v_div_fmas_f32 v32, v32, v37, v41
	v_fma_f32 v37, -v36, v33, v40
	v_fma_f32 v39, -v43, v42, 1.0
	.loc	1 50 30                         ; attention_fwd.py:50:30
	v_cmp_o_f32_e32 vcc_lo, v17, v17
	.loc	1 49 51                         ; attention_fwd.py:49:51
	v_ashrrev_i32_e32 v79, 31, v78
	.loc	1 48 16                         ; attention_fwd.py:48:16
	v_div_fixup_f32 v32, v32, v227, v15
	v_fmac_f32_e32 v33, v37, v38
	v_dual_fmac_f32 v42, v39, v42 :: v_dual_cndmask_b32 v17, 0x7fff, v31
	.loc	1 50 30                         ; attention_fwd.py:50:30
	v_add3_u32 v31, v34, v35, 0x7fff
	.loc	1 48 16                         ; attention_fwd.py:48:16
	v_div_scale_f32 v35, s0, v13, v227, v13
	v_div_scale_f32 v37, null, v227, v227, v12
	v_fma_f32 v36, -v36, v33, v40
	s_delay_alu instid0(VALU_DEP_3) | instskip(SKIP_1) | instid1(VALU_DEP_3)
	v_mul_f32_e32 v39, v35, v42
	s_mov_b32 vcc_lo, s1
	v_rcp_f32_e32 v40, v37
	.loc	1 50 30                         ; attention_fwd.py:50:30
	v_lshrrev_b32_e32 v15, 16, v31
	.loc	1 48 16                         ; attention_fwd.py:48:16
	v_div_fmas_f32 v33, v36, v38, v33
	v_fma_f32 v36, -v43, v39, v35
	.loc	1 50 30                         ; attention_fwd.py:50:30
	v_bfe_u32 v31, v32, 16, 1
	v_cmp_o_f32_e32 vcc_lo, v34, v34
	.loc	1 48 16                         ; attention_fwd.py:48:16
	v_div_scale_f32 v34, null, v227, v227, v11
	s_delay_alu instid0(VALU_DEP_4) | instskip(NEXT) | instid1(VALU_DEP_4)
	v_fmac_f32_e32 v39, v36, v42
	.loc	1 50 30                         ; attention_fwd.py:50:30
	v_add3_u32 v31, v32, v31, 0x7fff
	.loc	1 48 16                         ; attention_fwd.py:48:16
	v_div_fixup_f32 v33, v33, v227, v14
	v_fma_f32 v14, -v37, v40, 1.0
	v_rcp_f32_e32 v38, v34
	v_fma_f32 v35, -v43, v39, v35
	.loc	1 50 30                         ; attention_fwd.py:50:30
	v_cndmask_b32_e32 v15, 0x7fff, v15, vcc_lo
	.loc	1 48 16                         ; attention_fwd.py:48:16
	s_mov_b32 vcc_lo, s0
	.loc	1 50 30                         ; attention_fwd.py:50:30
	v_lshrrev_b32_e32 v31, 16, v31
	v_bfe_u32 v36, v33, 16, 1
	.loc	1 48 16                         ; attention_fwd.py:48:16
	v_fmac_f32_e32 v40, v14, v40
	v_div_scale_f32 v41, s1, v12, v227, v12
	v_div_fmas_f32 v35, v35, v42, v39
	.loc	1 50 30                         ; attention_fwd.py:50:30
	v_cmp_o_f32_e32 vcc_lo, v32, v32
	.loc	1 48 16                         ; attention_fwd.py:48:16
	v_div_scale_f32 v39, null, v227, v227, v10
	s_delay_alu instid0(VALU_DEP_4) | instskip(NEXT) | instid1(VALU_DEP_4)
	v_mul_f32_e32 v32, v41, v40
	v_div_fixup_f32 v35, v35, v227, v13
	.loc	1 50 30                         ; attention_fwd.py:50:30
	v_cndmask_b32_e32 v14, 0x7fff, v31, vcc_lo
	v_add3_u32 v31, v33, v36, 0x7fff
	.loc	1 48 16                         ; attention_fwd.py:48:16
	v_fma_f32 v36, -v34, v38, 1.0
	v_fma_f32 v13, -v37, v32, v41
	v_rcp_f32_e32 v42, v39
	.loc	1 50 30                         ; attention_fwd.py:50:30
	v_cmp_o_f32_e32 vcc_lo, v33, v33
	v_lshrrev_b32_e32 v31, 16, v31
	.loc	1 48 16                         ; attention_fwd.py:48:16
	v_fmac_f32_e32 v38, v36, v38
	v_div_scale_f32 v36, s0, v11, v227, v11
	s_delay_alu instid0(VALU_DEP_3) | instskip(SKIP_1) | instid1(VALU_DEP_2)
	v_dual_fmac_f32 v32, v13, v40 :: v_dual_cndmask_b32 v13, 0x7fff, v31
	s_mov_b32 vcc_lo, s1
	v_mul_f32_e32 v44, v36, v38
	.loc	1 50 30                         ; attention_fwd.py:50:30
	v_bfe_u32 v43, v35, 16, 1
	s_delay_alu instid0(VALU_DEP_3)
	.loc	1 48 16                         ; attention_fwd.py:48:16
	v_fma_f32 v33, -v37, v32, v41
	v_fma_f32 v41, -v39, v42, 1.0
	.loc	1 49 51                         ; attention_fwd.py:49:51
	v_lshlrev_b64 v[76:77], 1, v[76:77]
	.loc	1 48 16                         ; attention_fwd.py:48:16
	v_fma_f32 v37, -v34, v44, v36
	.loc	1 50 30                         ; attention_fwd.py:50:30
	v_add3_u32 v31, v35, v43, 0x7fff
	.loc	1 48 16                         ; attention_fwd.py:48:16
	v_div_fmas_f32 v32, v33, v40, v32
	v_fmac_f32_e32 v42, v41, v42
	v_div_scale_f32 v33, null, v227, v227, v9
	v_fmac_f32_e32 v44, v37, v38
	v_div_scale_f32 v37, s1, v10, v227, v10
	v_div_fixup_f32 v12, v32, v227, v12
	s_delay_alu instid0(VALU_DEP_4) | instskip(NEXT) | instid1(VALU_DEP_3)
	v_rcp_f32_e32 v32, v33
	v_fma_f32 v34, -v34, v44, v36
	s_delay_alu instid0(VALU_DEP_3) | instskip(SKIP_2) | instid1(VALU_DEP_3)
	v_mul_f32_e32 v36, v37, v42
	s_mov_b32 vcc_lo, s0
	v_div_scale_f32 v41, null, v227, v227, v8
	v_div_fmas_f32 v34, v34, v38, v44
	s_delay_alu instid0(VALU_DEP_3) | instskip(SKIP_2) | instid1(TRANS32_DEP_1)
	v_fma_f32 v38, -v39, v36, v37
	.loc	1 50 30                         ; attention_fwd.py:50:30
	v_bfe_u32 v40, v12, 16, 1
	v_lshrrev_b32_e32 v31, 16, v31
	.loc	1 48 16                         ; attention_fwd.py:48:16
	v_fma_f32 v43, -v33, v32, 1.0
	.loc	1 50 30                         ; attention_fwd.py:50:30
	v_cmp_o_f32_e32 vcc_lo, v35, v35
	.loc	1 48 16                         ; attention_fwd.py:48:16
	v_fmac_f32_e32 v36, v38, v42
	v_rcp_f32_e32 v38, v41
	.loc	1 50 30                         ; attention_fwd.py:50:30
	v_add3_u32 v40, v12, v40, 0x7fff
	.loc	1 48 16                         ; attention_fwd.py:48:16
	v_fmac_f32_e32 v32, v43, v32
	v_div_scale_f32 v43, s0, v9, v227, v9
	v_div_fixup_f32 v34, v34, v227, v11
	.loc	1 50 30                         ; attention_fwd.py:50:30
	v_cndmask_b32_e32 v11, 0x7fff, v31, vcc_lo
	v_lshrrev_b32_e32 v31, 16, v40
	.loc	1 48 16                         ; attention_fwd.py:48:16
	v_fma_f32 v37, -v39, v36, v37
	v_mul_f32_e32 v39, v43, v32
	s_delay_alu instid0(TRANS32_DEP_1)
	v_fma_f32 v40, -v41, v38, 1.0
	v_div_scale_f32 v44, null, v227, v227, v7
	s_mov_b32 vcc_lo, s1
	.loc	1 50 30                         ; attention_fwd.py:50:30
	v_bfe_u32 v35, v34, 16, 1
	.loc	1 48 16                         ; attention_fwd.py:48:16
	v_div_fmas_f32 v36, v37, v42, v36
	v_fma_f32 v37, -v33, v39, v43
	v_rcp_f32_e32 v42, v44
	v_fmac_f32_e32 v38, v40, v38
	v_div_scale_f32 v40, s1, v8, v227, v8
	.loc	1 50 30                         ; attention_fwd.py:50:30
	v_cmp_o_f32_e32 vcc_lo, v12, v12
	.loc	1 48 16                         ; attention_fwd.py:48:16
	v_fmac_f32_e32 v39, v37, v32
	.loc	1 49 51                         ; attention_fwd.py:49:51
	v_lshlrev_b64 v[78:79], 1, v[78:79]
	.loc	1 48 16                         ; attention_fwd.py:48:16
	v_fmac_f32_e32 v89, v82, v89
	.loc	1 49 69                         ; attention_fwd.py:49:69
	v_mul_lo_u32 v82, s65, v119
	.loc	1 50 30                         ; attention_fwd.py:50:30
	v_cndmask_b32_e32 v12, 0x7fff, v31, vcc_lo
	v_add3_u32 v31, v34, v35, 0x7fff
	.loc	1 48 16                         ; attention_fwd.py:48:16
	v_div_fixup_f32 v35, v36, v227, v10
	v_mul_f32_e32 v36, v40, v38
	v_fma_f32 v10, -v44, v42, 1.0
	v_fma_f32 v33, -v33, v39, v43
	s_mov_b32 vcc_lo, s0
	.loc	1 50 30                         ; attention_fwd.py:50:30
	v_lshrrev_b32_e32 v31, 16, v31
	.loc	1 48 16                         ; attention_fwd.py:48:16
	v_fma_f32 v43, -v41, v36, v40
	v_fmac_f32_e32 v42, v10, v42
	v_div_fmas_f32 v32, v33, v32, v39
	.loc	1 50 30                         ; attention_fwd.py:50:30
	v_cmp_o_f32_e32 vcc_lo, v34, v34
	v_bfe_u32 v37, v35, 16, 1
	.loc	1 48 16                         ; attention_fwd.py:48:16
	v_fmac_f32_e32 v36, v43, v38
	v_mul_f32_e32 v33, v45, v42
	v_div_fixup_f32 v9, v32, v227, v9
	.loc	1 50 30                         ; attention_fwd.py:50:30
	v_cndmask_b32_e32 v10, 0x7fff, v31, vcc_lo
	.loc	1 48 16                         ; attention_fwd.py:48:16
	s_mov_b32 vcc_lo, s1
	v_fma_f32 v34, -v41, v36, v40
	v_fma_f32 v32, -v44, v33, v45
	.loc	1 50 30                         ; attention_fwd.py:50:30
	v_add3_u32 v31, v35, v37, 0x7fff
	.loc	1 48 16                         ; attention_fwd.py:48:16
	v_div_scale_f32 v39, null, v227, v227, v4
	s_delay_alu instid0(VALU_DEP_4)
	v_div_fmas_f32 v34, v34, v38, v36
	.loc	1 50 30                         ; attention_fwd.py:50:30
	v_bfe_u32 v36, v9, 16, 1
	.loc	1 48 16                         ; attention_fwd.py:48:16
	v_fmac_f32_e32 v33, v32, v42
	s_mov_b32 vcc_lo, s2
	v_div_scale_f32 v32, null, v227, v227, v6
	v_div_fixup_f32 v34, v34, v227, v8
	.loc	1 50 30                         ; attention_fwd.py:50:30
	v_lshrrev_b32_e32 v8, 16, v31
	v_add3_u32 v31, v9, v36, 0x7fff
	.loc	1 48 16                         ; attention_fwd.py:48:16
	v_fma_f32 v36, -v44, v33, v45
	v_rcp_f32_e32 v37, v32
	.loc	1 50 30                         ; attention_fwd.py:50:30
	v_bfe_u32 v38, v34, 16, 1
	v_cmp_o_f32_e64 s0, v34, v34
	v_lshrrev_b32_e32 v31, 16, v31
	.loc	1 48 16                         ; attention_fwd.py:48:16
	v_div_fmas_f32 v33, v36, v42, v33
	.loc	1 50 30                         ; attention_fwd.py:50:30
	v_cmp_o_f32_e32 vcc_lo, v35, v35
	v_add3_u32 v35, v34, v38, 0x7fff
	.loc	1 48 16                         ; attention_fwd.py:48:16
	v_div_scale_f32 v38, null, v227, v227, v5
	v_div_scale_f32 v42, null, v227, v227, v3
	.loc	1 50 30                         ; attention_fwd.py:50:30
	v_cndmask_b32_e32 v8, 0x7fff, v8, vcc_lo
	v_cmp_o_f32_e32 vcc_lo, v9, v9
	v_lshrrev_b32_e32 v9, 16, v35
	.loc	1 48 16                         ; attention_fwd.py:48:16
	v_rcp_f32_e32 v35, v38
	v_rcp_f32_e32 v44, v42
	v_div_fixup_f32 v33, v33, v227, v7
	v_fma_f32 v36, -v32, v37, 1.0
	.loc	1 50 30                         ; attention_fwd.py:50:30
	v_cndmask_b32_e64 v9, 0x7fff, v9, s0
	.loc	1 48 16                         ; attention_fwd.py:48:16
	v_rcp_f32_e32 v40, v39
	s_delay_alu instid0(VALU_DEP_3) | instskip(NEXT) | instid1(TRANS32_DEP_3)
	.loc	1 50 30                         ; attention_fwd.py:50:30
	v_cmp_o_f32_e64 s2, v33, v33
	.loc	1 48 16                         ; attention_fwd.py:48:16
	v_fma_f32 v41, -v38, v35, 1.0
	s_delay_alu instid0(TRANS32_DEP_2) | instskip(NEXT) | instid1(VALU_DEP_2)
	v_fma_f32 v48, -v42, v44, 1.0
	v_fmac_f32_e32 v35, v41, v35
	v_div_scale_f32 v41, s0, v5, v227, v5
	s_delay_alu instid0(VALU_DEP_3) | instskip(SKIP_1) | instid1(VALU_DEP_3)
	v_dual_fmac_f32 v44, v48, v44 :: v_dual_cndmask_b32 v7, 0x7fff, v31
	.loc	1 50 30                         ; attention_fwd.py:50:30
	v_bfe_u32 v31, v33, 16, 1
	.loc	1 48 16                         ; attention_fwd.py:48:16
	v_mul_f32_e32 v46, v41, v35
	s_delay_alu instid0(TRANS32_DEP_1) | instskip(NEXT) | instid1(VALU_DEP_3)
	v_fma_f32 v45, -v39, v40, 1.0
	.loc	1 50 30                         ; attention_fwd.py:50:30
	v_add3_u32 v31, v33, v31, 0x7fff
	s_delay_alu instid0(VALU_DEP_3) | instskip(SKIP_3) | instid1(VALU_DEP_4)
	.loc	1 48 16                         ; attention_fwd.py:48:16
	v_fma_f32 v33, -v38, v46, v41
	v_fmac_f32_e32 v37, v36, v37
	v_div_scale_f32 v36, vcc_lo, v6, v227, v6
	v_fmac_f32_e32 v40, v45, v40
	v_fmac_f32_e32 v46, v33, v35
	v_div_scale_f32 v45, s1, v4, v227, v4
	s_delay_alu instid0(VALU_DEP_4) | instskip(SKIP_1) | instid1(VALU_DEP_2)
	v_mul_f32_e32 v34, v36, v37
	.loc	1 50 30                         ; attention_fwd.py:50:30
	v_lshrrev_b32_e32 v31, 16, v31
	.loc	1 48 16                         ; attention_fwd.py:48:16
	v_fma_f32 v43, -v32, v34, v36
	s_delay_alu instid0(VALU_DEP_2) | instskip(SKIP_1) | instid1(VALU_DEP_3)
	.loc	1 50 30                         ; attention_fwd.py:50:30
	v_cndmask_b32_e64 v31, 0x7fff, v31, s2
	.loc	1 48 16                         ; attention_fwd.py:48:16
	v_div_scale_f32 v48, s2, v3, v227, v3
	v_fmac_f32_e32 v34, v43, v37
	v_div_scale_f32 v43, null, v227, v227, v2
	s_delay_alu instid0(VALU_DEP_2) | instskip(NEXT) | instid1(VALU_DEP_2)
	v_fma_f32 v32, -v32, v34, v36
	v_rcp_f32_e32 v47, v43
	v_mul_f32_e32 v36, v45, v40
	s_delay_alu instid0(VALU_DEP_2) | instskip(SKIP_1) | instid1(VALU_DEP_3)
	v_div_fmas_f32 v32, v32, v37, v34
	v_div_scale_f32 v37, s3, v2, v227, v2
	v_fma_f32 v33, -v39, v36, v45
	v_mul_f32_e32 v34, v48, v44
	s_delay_alu instid0(VALU_DEP_4) | instskip(NEXT) | instid1(TRANS32_DEP_1)
	v_div_fixup_f32 v6, v32, v227, v6
	v_fma_f32 v49, -v43, v47, 1.0
	v_fma_f32 v32, -v38, v46, v41
	v_fmac_f32_e32 v36, v33, v40
	v_fma_f32 v33, -v42, v34, v48
	s_mov_b32 vcc_lo, s0
	v_fmac_f32_e32 v47, v49, v47
	v_div_fmas_f32 v32, v32, v35, v46
	v_fma_f32 v35, -v39, v36, v45
	v_fmac_f32_e32 v34, v33, v44
	s_mov_b32 vcc_lo, s1
	v_mul_f32_e32 v38, v37, v47
	v_div_scale_f32 v97, s0, v1, v227, v1
	v_div_fmas_f32 v33, v35, v40, v36
	v_div_fixup_f32 v5, v32, v227, v5
	s_delay_alu instid0(VALU_DEP_4) | instskip(SKIP_3) | instid1(VALU_DEP_4)
	v_fma_f32 v39, -v43, v38, v37
	v_fma_f32 v32, -v42, v34, v48
	.loc	1 50 30                         ; attention_fwd.py:50:30
	v_bfe_u32 v35, v6, 16, 1
	.loc	1 48 16                         ; attention_fwd.py:48:16
	v_div_fixup_f32 v33, v33, v227, v4
	v_dual_mul_f32 v99, v97, v89 :: v_dual_fmac_f32 v38, v39, v47
	s_mov_b32 vcc_lo, s2
	.loc	1 49 69                         ; attention_fwd.py:49:69
	v_mul_lo_u32 v40, s65, v140
	.loc	1 48 16                         ; attention_fwd.py:48:16
	v_div_fmas_f32 v32, v32, v44, v34
	s_mov_b32 vcc_lo, s3
	v_fma_f32 v4, -v43, v38, v37
	.loc	1 50 30                         ; attention_fwd.py:50:30
	v_add3_u32 v34, v6, v35, 0x7fff
	v_bfe_u32 v35, v5, 16, 1
	.loc	1 48 16                         ; attention_fwd.py:48:16
	v_div_fixup_f32 v37, v32, v227, v3
	.loc	1 50 30                         ; attention_fwd.py:50:30
	v_bfe_u32 v36, v33, 16, 1
	.loc	1 48 16                         ; attention_fwd.py:48:16
	v_div_fmas_f32 v4, v4, v47, v38
	.loc	1 50 30                         ; attention_fwd.py:50:30
	v_cmp_o_f32_e32 vcc_lo, v6, v6
	v_add3_u32 v3, v5, v35, 0x7fff
	v_bfe_u32 v32, v37, 16, 1
	.loc	1 48 16                         ; attention_fwd.py:48:16
	v_fma_f32 v85, -v88, v99, v97
	v_div_fixup_f32 v38, v4, v227, v2
	.loc	1 50 30                         ; attention_fwd.py:50:30
	v_lshrrev_b32_e32 v2, 16, v34
	v_add3_u32 v4, v33, v36, 0x7fff
	v_lshrrev_b32_e32 v3, 16, v3
	v_add3_u32 v32, v37, v32, 0x7fff
	v_bfe_u32 v34, v38, 16, 1
	v_cndmask_b32_e32 v6, 0x7fff, v2, vcc_lo
	v_cmp_o_f32_e32 vcc_lo, v5, v5
	.loc	1 49 39                         ; attention_fwd.py:49:39
	v_mul_lo_u32 v2, s64, v114
	.loc	1 50 30                         ; attention_fwd.py:50:30
	v_lshrrev_b32_e32 v35, 16, v4
	v_add3_u32 v34, v38, v34, 0x7fff
	.loc	1 49 69                         ; attention_fwd.py:49:69
	v_mul_lo_u32 v4, s65, v113
	.loc	1 50 30                         ; attention_fwd.py:50:30
	v_dual_cndmask_b32 v90, 0x7fff, v3 :: v_dual_fmac_f32 v99, v85, v89
	v_cmp_o_f32_e32 vcc_lo, v33, v33
	v_lshrrev_b32_e32 v33, 16, v32
	.loc	1 49 21                         ; attention_fwd.py:49:21
	v_ashrrev_i32_e32 v3, 31, v2
	.loc	1 49 69 is_stmt 0               ; attention_fwd.py:49:69
	v_mul_lo_u32 v32, s65, v145
	.loc	1 50 30 is_stmt 1               ; attention_fwd.py:50:30
	v_lshrrev_b32_e32 v34, 16, v34
	v_cndmask_b32_e32 v91, 0x7fff, v35, vcc_lo
	v_cmp_o_f32_e32 vcc_lo, v37, v37
	.loc	1 49 21                         ; attention_fwd.py:49:21
	v_lshlrev_b64 v[2:3], 1, v[2:3]
	.loc	1 49 51 is_stmt 0               ; attention_fwd.py:49:51
	v_ashrrev_i32_e32 v5, 31, v4
	.loc	1 49 69                         ; attention_fwd.py:49:69
	v_mul_lo_u32 v36, s65, v142
	v_mul_lo_u32 v42, s65, v139
	.loc	1 50 30 is_stmt 1               ; attention_fwd.py:50:30
	v_cndmask_b32_e32 v92, 0x7fff, v33, vcc_lo
	v_cmp_o_f32_e32 vcc_lo, v38, v38
	.loc	1 49 51                         ; attention_fwd.py:49:51
	v_ashrrev_i32_e32 v33, 31, v32
	.loc	1 49 69 is_stmt 0               ; attention_fwd.py:49:69
	v_mul_lo_u32 v38, s65, v141
	.loc	1 49 51                         ; attention_fwd.py:49:51
	v_lshlrev_b64 v[4:5], 1, v[4:5]
	.loc	1 49 69                         ; attention_fwd.py:49:69
	v_mul_lo_u32 v44, s65, v138
	.loc	1 50 30 is_stmt 1               ; attention_fwd.py:50:30
	v_cndmask_b32_e32 v93, 0x7fff, v34, vcc_lo
	.loc	1 49 69                         ; attention_fwd.py:49:69
	v_mul_lo_u32 v34, s65, v144
	.loc	1 49 21 is_stmt 0               ; attention_fwd.py:49:21
	v_add_co_u32 v94, vcc_lo, s68, v2
	s_delay_alu instid0(VALU_DEP_1)
	v_add_co_ci_u32_e64 v95, null, s69, v3, vcc_lo
	.loc	1 49 51                         ; attention_fwd.py:49:51
	v_lshlrev_b64 v[2:3], 1, v[32:33]
	.loc	1 49 69                         ; attention_fwd.py:49:69
	v_mul_lo_u32 v32, s65, v143
	.loc	1 49 51                         ; attention_fwd.py:49:51
	v_ashrrev_i32_e32 v37, 31, v36
	v_ashrrev_i32_e32 v35, 31, v34
	;; [unrolled: 1-line block ×3, first 2 shown]
	.loc	1 49 69                         ; attention_fwd.py:49:69
	v_mul_lo_u32 v46, s65, v137
	.loc	1 49 51                         ; attention_fwd.py:49:51
	v_add_co_u32 v4, vcc_lo, v94, v4
	s_delay_alu instid0(VALU_DEP_4) | instskip(SKIP_4) | instid1(VALU_DEP_4)
	v_lshlrev_b64 v[34:35], 1, v[34:35]
	v_ashrrev_i32_e32 v33, 31, v32
	v_ashrrev_i32_e32 v41, 31, v40
	.loc	1 49 69                         ; attention_fwd.py:49:69
	v_mul_lo_u32 v48, s65, v136
	.loc	1 49 51                         ; attention_fwd.py:49:51
	v_add_co_ci_u32_e64 v5, null, v95, v5, vcc_lo
	v_lshlrev_b64 v[32:33], 1, v[32:33]
	v_add_co_u32 v2, vcc_lo, v94, v2
	v_lshlrev_b64 v[36:37], 1, v[36:37]
	v_ashrrev_i32_e32 v43, 31, v42
	v_add_co_ci_u32_e64 v3, null, v95, v3, vcc_lo
	v_add_co_u32 v34, vcc_lo, v94, v34
	v_lshlrev_b64 v[38:39], 1, v[38:39]
	v_ashrrev_i32_e32 v45, 31, v44
	v_add_co_ci_u32_e64 v35, null, v95, v35, vcc_lo
	;; [unrolled: 4-line block ×4, first 2 shown]
	v_add_co_u32 v38, vcc_lo, v94, v38
	v_lshlrev_b64 v[44:45], 1, v[44:45]
	v_add_co_ci_u32_e64 v39, null, v95, v39, vcc_lo
	v_add_co_u32 v40, vcc_lo, v94, v40
	v_lshlrev_b64 v[46:47], 1, v[46:47]
	v_add_co_ci_u32_e64 v41, null, v95, v41, vcc_lo
	;; [unrolled: 3-line block ×3, first 2 shown]
	v_add_co_u32 v44, vcc_lo, v94, v44
	s_delay_alu instid0(VALU_DEP_1) | instskip(SKIP_1) | instid1(VALU_DEP_1)
	v_add_co_ci_u32_e64 v45, null, v95, v45, vcc_lo
	v_add_co_u32 v46, vcc_lo, v94, v46
	v_add_co_ci_u32_e64 v47, null, v95, v47, vcc_lo
	v_add_co_u32 v48, vcc_lo, v94, v48
	s_delay_alu instid0(VALU_DEP_1) | instskip(SKIP_1) | instid1(VALU_DEP_1)
	v_add_co_ci_u32_e64 v49, null, v95, v49, vcc_lo
	v_add_co_u32 v50, vcc_lo, v94, v50
	v_add_co_ci_u32_e64 v51, null, v95, v51, vcc_lo
	;; [unrolled: 5-line block ×8, first 2 shown]
	.loc	1 48 16 is_stmt 1               ; attention_fwd.py:48:16
	v_div_scale_f32 v96, vcc_lo, v0, v227, v0
	v_fma_f32 v88, -v88, v99, v97
	.loc	1 49 51                         ; attention_fwd.py:49:51
	v_ashrrev_i32_e32 v85, 31, v84
	v_add_co_u32 v76, s1, v94, v76
	s_delay_alu instid0(VALU_DEP_4) | instskip(SKIP_2) | instid1(VALU_DEP_3)
	.loc	1 48 16                         ; attention_fwd.py:48:16
	v_mul_f32_e32 v98, v96, v87
	.loc	1 49 51                         ; attention_fwd.py:49:51
	v_add_co_ci_u32_e64 v77, null, v95, v77, s1
	v_add_co_u32 v78, s1, v94, v78
	.loc	1 48 16                         ; attention_fwd.py:48:16
	v_fma_f32 v83, -v86, v98, v96
	.loc	1 49 51                         ; attention_fwd.py:49:51
	v_add_co_ci_u32_e64 v79, null, v95, v79, s1
	s_delay_alu instid0(VALU_DEP_2) | instskip(SKIP_1) | instid1(VALU_DEP_2)
	.loc	1 48 16                         ; attention_fwd.py:48:16
	v_fmac_f32_e32 v98, v83, v87
	.loc	1 49 51                         ; attention_fwd.py:49:51
	v_ashrrev_i32_e32 v83, 31, v82
	.loc	1 48 16                         ; attention_fwd.py:48:16
	v_fma_f32 v96, -v86, v98, v96
	.loc	1 49 69                         ; attention_fwd.py:49:69
	v_mul_lo_u32 v86, s65, v117
	s_delay_alu instid0(VALU_DEP_2) | instskip(SKIP_3) | instid1(VALU_DEP_3)
	.loc	1 48 16                         ; attention_fwd.py:48:16
	v_div_fmas_f32 v87, v96, v87, v98
	s_mov_b32 vcc_lo, s0
	v_div_fmas_f32 v88, v88, v89, v99
	.loc	1 49 51                         ; attention_fwd.py:49:51
	v_add_co_u32 v80, vcc_lo, v94, v80
	.loc	1 48 16                         ; attention_fwd.py:48:16
	v_div_fixup_f32 v96, v87, v227, v0
	.loc	1 49 51                         ; attention_fwd.py:49:51
	v_ashrrev_i32_e32 v87, 31, v86
	s_delay_alu instid0(VALU_DEP_4)
	.loc	1 48 16                         ; attention_fwd.py:48:16
	v_div_fixup_f32 v97, v88, v227, v1
	.loc	1 49 51                         ; attention_fwd.py:49:51
	v_lshlrev_b64 v[0:1], 1, v[82:83]
	v_lshlrev_b64 v[82:83], 1, v[84:85]
	.loc	1 50 30                         ; attention_fwd.py:50:30
	v_bfe_u32 v85, v96, 16, 1
	.loc	1 49 69                         ; attention_fwd.py:49:69
	v_mul_lo_u32 v84, s65, v116
	.loc	1 50 30                         ; attention_fwd.py:50:30
	v_bfe_u32 v88, v97, 16, 1
	.loc	1 49 51                         ; attention_fwd.py:49:51
	v_lshlrev_b64 v[86:87], 1, v[86:87]
	v_add_co_ci_u32_e64 v81, null, v95, v81, vcc_lo
	.loc	1 50 30                         ; attention_fwd.py:50:30
	v_add3_u32 v89, v96, v85, 0x7fff
	s_delay_alu instid0(VALU_DEP_4) | instskip(SKIP_2) | instid1(VALU_DEP_1)
	v_add3_u32 v98, v97, v88, 0x7fff
	.loc	1 49 69                         ; attention_fwd.py:49:69
	v_mul_lo_u32 v88, s65, v112
	.loc	1 49 51 is_stmt 0               ; attention_fwd.py:49:51
	v_add_co_u32 v82, vcc_lo, v94, v82
	v_add_co_ci_u32_e64 v83, null, v95, v83, vcc_lo
	v_add_co_u32 v86, vcc_lo, v94, v86
	v_ashrrev_i32_e32 v85, 31, v84
	v_add_co_ci_u32_e64 v87, null, v95, v87, vcc_lo
	.loc	1 50 30 is_stmt 1               ; attention_fwd.py:50:30
	v_lshrrev_b32_e32 v99, 16, v89
	v_cmp_o_f32_e32 vcc_lo, v96, v96
	.loc	1 49 51                         ; attention_fwd.py:49:51
	v_ashrrev_i32_e32 v89, 31, v88
	v_lshlrev_b64 v[84:85], 1, v[84:85]
	.loc	1 50 30                         ; attention_fwd.py:50:30
	v_lshrrev_b32_e32 v98, 16, v98
	v_cndmask_b32_e32 v96, 0x7fff, v99, vcc_lo
	v_cmp_o_f32_e32 vcc_lo, v97, v97
	.loc	1 49 51                         ; attention_fwd.py:49:51
	v_lshlrev_b64 v[88:89], 1, v[88:89]
	s_delay_alu instid0(VALU_DEP_4) | instskip(SKIP_1) | instid1(VALU_DEP_1)
	.loc	1 50 30                         ; attention_fwd.py:50:30
	v_cndmask_b32_e32 v97, 0x7fff, v98, vcc_lo
	.loc	1 49 51                         ; attention_fwd.py:49:51
	v_add_co_u32 v84, vcc_lo, v94, v84
	v_add_co_ci_u32_e64 v85, null, v95, v85, vcc_lo
	s_delay_alu instid0(VALU_DEP_4) | instskip(NEXT) | instid1(VALU_DEP_1)
	v_add_co_u32 v88, vcc_lo, v94, v88
	v_add_co_ci_u32_e64 v89, null, v95, v89, vcc_lo
	v_add_co_u32 v0, vcc_lo, v94, v0
	s_delay_alu instid0(VALU_DEP_1)
	v_add_co_ci_u32_e64 v1, null, v95, v1, vcc_lo
	.loc	1 50 23                         ; attention_fwd.py:50:23
	s_clause 0x1f
	global_store_b16 v[88:89], v96, off
	global_store_b16 v[84:85], v97, off
	;; [unrolled: 1-line block ×32, first 2 shown]
	.loc	1 50 4 is_stmt 0                ; attention_fwd.py:50:4
	s_nop 0
	s_sendmsg sendmsg(MSG_DEALLOC_VGPRS)
	s_endpgm
.Ltmp113:
	.section	.rodata,"a",@progbits
	.p2align	6, 0x0
	.amdhsa_kernel attention_fwd_kernel
		.amdhsa_group_segment_fixed_size 0
		.amdhsa_private_segment_fixed_size 252
		.amdhsa_kernarg_size 88
		.amdhsa_user_sgpr_count 15
		.amdhsa_user_sgpr_dispatch_ptr 0
		.amdhsa_user_sgpr_queue_ptr 0
		.amdhsa_user_sgpr_kernarg_segment_ptr 1
		.amdhsa_user_sgpr_dispatch_id 0
		.amdhsa_user_sgpr_private_segment_size 0
		.amdhsa_wavefront_size32 1
		.amdhsa_uses_dynamic_stack 0
		.amdhsa_enable_private_segment 1
		.amdhsa_system_sgpr_workgroup_id_x 1
		.amdhsa_system_sgpr_workgroup_id_y 0
		.amdhsa_system_sgpr_workgroup_id_z 0
		.amdhsa_system_sgpr_workgroup_info 0
		.amdhsa_system_vgpr_workitem_id 0
		.amdhsa_next_free_vgpr 256
		.amdhsa_next_free_sgpr 105
		.amdhsa_reserve_vcc 1
		.amdhsa_float_round_mode_32 0
		.amdhsa_float_round_mode_16_64 0
		.amdhsa_float_denorm_mode_32 3
		.amdhsa_float_denorm_mode_16_64 3
		.amdhsa_dx10_clamp 1
		.amdhsa_ieee_mode 1
		.amdhsa_fp16_overflow 0
		.amdhsa_workgroup_processor_mode 1
		.amdhsa_memory_ordered 1
		.amdhsa_forward_progress 1
		.amdhsa_shared_vgpr_count 0
		.amdhsa_inst_pref_size 63
		.amdhsa_exception_fp_ieee_invalid_op 0
		.amdhsa_exception_fp_denorm_src 0
		.amdhsa_exception_fp_ieee_div_zero 0
		.amdhsa_exception_fp_ieee_overflow 0
		.amdhsa_exception_fp_ieee_underflow 0
		.amdhsa_exception_fp_ieee_inexact 0
		.amdhsa_exception_int_div_zero 0
	.end_amdhsa_kernel
	.text
.Lfunc_end0:
	.size	attention_fwd_kernel, .Lfunc_end0-attention_fwd_kernel
	.cfi_endproc
                                        ; -- End function
	.set attention_fwd_kernel.num_vgpr, 256
	.set attention_fwd_kernel.num_agpr, 0
	.set attention_fwd_kernel.numbered_sgpr, 105
	.set attention_fwd_kernel.num_named_barrier, 0
	.set attention_fwd_kernel.private_seg_size, 252
	.set attention_fwd_kernel.uses_vcc, 1
	.set attention_fwd_kernel.uses_flat_scratch, 1
	.set attention_fwd_kernel.has_dyn_sized_stack, 0
	.set attention_fwd_kernel.has_recursion, 0
	.set attention_fwd_kernel.has_indirect_call, 0
	.section	.AMDGPU.csdata,"",@progbits
; Kernel info:
; codeLenInByte = 44184
; TotalNumSgprs: 107
; NumVgprs: 256
; ScratchSize: 252
; MemoryBound: 0
; FloatMode: 240
; IeeeMode: 1
; LDSByteSize: 0 bytes/workgroup (compile time only)
; SGPRBlocks: 0
; VGPRBlocks: 31
; NumSGPRsForWavesPerEU: 107
; NumVGPRsForWavesPerEU: 256
; Occupancy: 5
; WaveLimiterHint : 0
; COMPUTE_PGM_RSRC2:SCRATCH_EN: 1
; COMPUTE_PGM_RSRC2:USER_SGPR: 15
; COMPUTE_PGM_RSRC2:TRAP_HANDLER: 0
; COMPUTE_PGM_RSRC2:TGID_X_EN: 1
; COMPUTE_PGM_RSRC2:TGID_Y_EN: 0
; COMPUTE_PGM_RSRC2:TGID_Z_EN: 0
; COMPUTE_PGM_RSRC2:TIDIG_COMP_CNT: 0
	.text
	.p2alignl 7, 3214868480
	.fill 96, 4, 3214868480
	.section	.AMDGPU.gpr_maximums,"",@progbits
	.set amdgpu.max_num_vgpr, 0
	.set amdgpu.max_num_agpr, 0
	.set amdgpu.max_num_sgpr, 0
	.set amdgpu.max_num_named_barrier, 0
	.text
	.section	.debug_abbrev,"",@progbits
	.byte	1                               ; Abbreviation Code
	.byte	17                              ; DW_TAG_compile_unit
	.byte	1                               ; DW_CHILDREN_yes
	.byte	37                              ; DW_AT_producer
	.byte	14                              ; DW_FORM_strp
	.byte	19                              ; DW_AT_language
	.byte	5                               ; DW_FORM_data2
	.byte	3                               ; DW_AT_name
	.byte	14                              ; DW_FORM_strp
	.byte	16                              ; DW_AT_stmt_list
	.byte	23                              ; DW_FORM_sec_offset
	.byte	27                              ; DW_AT_comp_dir
	.byte	14                              ; DW_FORM_strp
	.byte	17                              ; DW_AT_low_pc
	.byte	1                               ; DW_FORM_addr
	.byte	18                              ; DW_AT_high_pc
	.byte	6                               ; DW_FORM_data4
	.byte	0                               ; EOM(1)
	.byte	0                               ; EOM(2)
	.byte	2                               ; Abbreviation Code
	.byte	46                              ; DW_TAG_subprogram
	.byte	0                               ; DW_CHILDREN_no
	.byte	3                               ; DW_AT_name
	.byte	14                              ; DW_FORM_strp
	.byte	32                              ; DW_AT_inline
	.byte	11                              ; DW_FORM_data1
	.byte	0                               ; EOM(1)
	.byte	0                               ; EOM(2)
	.byte	3                               ; Abbreviation Code
	.byte	46                              ; DW_TAG_subprogram
	.byte	1                               ; DW_CHILDREN_yes
	.byte	17                              ; DW_AT_low_pc
	.byte	1                               ; DW_FORM_addr
	.byte	18                              ; DW_AT_high_pc
	.byte	6                               ; DW_FORM_data4
	.byte	49                              ; DW_AT_abstract_origin
	.byte	19                              ; DW_FORM_ref4
	.byte	0                               ; EOM(1)
	.byte	0                               ; EOM(2)
	.byte	4                               ; Abbreviation Code
	.byte	29                              ; DW_TAG_inlined_subroutine
	.byte	1                               ; DW_CHILDREN_yes
	.byte	49                              ; DW_AT_abstract_origin
	.byte	19                              ; DW_FORM_ref4
	.byte	85                              ; DW_AT_ranges
	.byte	23                              ; DW_FORM_sec_offset
	.byte	88                              ; DW_AT_call_file
	.byte	11                              ; DW_FORM_data1
	.byte	89                              ; DW_AT_call_line
	.byte	11                              ; DW_FORM_data1
	.byte	87                              ; DW_AT_call_column
	.byte	11                              ; DW_FORM_data1
	.byte	0                               ; EOM(1)
	.byte	0                               ; EOM(2)
	.byte	5                               ; Abbreviation Code
	.byte	29                              ; DW_TAG_inlined_subroutine
	.byte	0                               ; DW_CHILDREN_no
	.byte	49                              ; DW_AT_abstract_origin
	.byte	19                              ; DW_FORM_ref4
	.byte	85                              ; DW_AT_ranges
	.byte	23                              ; DW_FORM_sec_offset
	.byte	88                              ; DW_AT_call_file
	.byte	11                              ; DW_FORM_data1
	.byte	89                              ; DW_AT_call_line
	.byte	5                               ; DW_FORM_data2
	.byte	87                              ; DW_AT_call_column
	.byte	11                              ; DW_FORM_data1
	.byte	0                               ; EOM(1)
	.byte	0                               ; EOM(2)
	.byte	6                               ; Abbreviation Code
	.byte	29                              ; DW_TAG_inlined_subroutine
	.byte	0                               ; DW_CHILDREN_no
	.byte	49                              ; DW_AT_abstract_origin
	.byte	19                              ; DW_FORM_ref4
	.byte	85                              ; DW_AT_ranges
	.byte	23                              ; DW_FORM_sec_offset
	.byte	88                              ; DW_AT_call_file
	.byte	11                              ; DW_FORM_data1
	.byte	89                              ; DW_AT_call_line
	.byte	11                              ; DW_FORM_data1
	.byte	87                              ; DW_AT_call_column
	.byte	11                              ; DW_FORM_data1
	.byte	0                               ; EOM(1)
	.byte	0                               ; EOM(2)
	;; [unrolled: 1-line block ×3, first 2 shown]
	.section	.debug_info,"",@progbits
.Lcu_begin0:
	.long	.Ldebug_info_end0-.Ldebug_info_start0 ; Length of Unit
.Ldebug_info_start0:
	.short	4                               ; DWARF version number
	.long	.debug_abbrev                   ; Offset Into Abbrev. Section
	.byte	8                               ; Address Size (in bytes)
	.byte	1                               ; Abbrev [1] 0xb:0x6b DW_TAG_compile_unit
	.long	.Linfo_string0                  ; DW_AT_producer
	.short	2                               ; DW_AT_language
	.long	.Linfo_string1                  ; DW_AT_name
	.long	.Lline_table_start0             ; DW_AT_stmt_list
	.long	.Linfo_string2                  ; DW_AT_comp_dir
	.quad	.Lfunc_begin0                   ; DW_AT_low_pc
	.long	.Lfunc_end0-.Lfunc_begin0       ; DW_AT_high_pc
	.byte	2                               ; Abbrev [2] 0x2a:0x6 DW_TAG_subprogram
	.long	.Linfo_string3                  ; DW_AT_name
	.byte	1                               ; DW_AT_inline
	.byte	3                               ; Abbrev [3] 0x30:0x45 DW_TAG_subprogram
	.quad	.Lfunc_begin0                   ; DW_AT_low_pc
	.long	.Lfunc_end0-.Lfunc_begin0       ; DW_AT_high_pc
	.long	42                              ; DW_AT_abstract_origin
	.byte	4                               ; Abbrev [4] 0x41:0x1a DW_TAG_inlined_subroutine
	.long	42                              ; DW_AT_abstract_origin
	.long	.Ldebug_ranges0                 ; DW_AT_ranges
	.byte	1                               ; DW_AT_call_file
	.byte	42                              ; DW_AT_call_line
	.byte	38                              ; DW_AT_call_column
	.byte	5                               ; Abbrev [5] 0x4d:0xd DW_TAG_inlined_subroutine
	.long	42                              ; DW_AT_abstract_origin
	.long	.Ldebug_ranges1                 ; DW_AT_ranges
	.byte	2                               ; DW_AT_call_file
	.short	293                             ; DW_AT_call_line
	.byte	36                              ; DW_AT_call_column
	.byte	0                               ; End Of Children Mark
	.byte	4                               ; Abbrev [4] 0x5b:0x19 DW_TAG_inlined_subroutine
	.long	42                              ; DW_AT_abstract_origin
	.long	.Ldebug_ranges2                 ; DW_AT_ranges
	.byte	1                               ; DW_AT_call_file
	.byte	39                              ; DW_AT_call_line
	.byte	42                              ; DW_AT_call_column
	.byte	6                               ; Abbrev [6] 0x67:0xc DW_TAG_inlined_subroutine
	.long	42                              ; DW_AT_abstract_origin
	.long	.Ldebug_ranges3                 ; DW_AT_ranges
	.byte	2                               ; DW_AT_call_file
	.byte	191                             ; DW_AT_call_line
	.byte	40                              ; DW_AT_call_column
	.byte	0                               ; End Of Children Mark
	.byte	0                               ; End Of Children Mark
	;; [unrolled: 1-line block ×3, first 2 shown]
.Ldebug_info_end0:
	.section	.debug_ranges,"",@progbits
.Ldebug_ranges0:
	.quad	.Ltmp1-.Lfunc_begin0
	.quad	.Ltmp2-.Lfunc_begin0
	.quad	.Ltmp18-.Lfunc_begin0
	.quad	.Ltmp20-.Lfunc_begin0
	.quad	.Ltmp54-.Lfunc_begin0
	.quad	.Ltmp55-.Lfunc_begin0
	.quad	.Ltmp56-.Lfunc_begin0
	.quad	.Ltmp57-.Lfunc_begin0
	.quad	.Ltmp58-.Lfunc_begin0
	.quad	.Ltmp59-.Lfunc_begin0
	.quad	.Ltmp60-.Lfunc_begin0
	.quad	.Ltmp61-.Lfunc_begin0
	.quad	.Ltmp62-.Lfunc_begin0
	.quad	.Ltmp63-.Lfunc_begin0
	.quad	.Ltmp64-.Lfunc_begin0
	.quad	.Ltmp65-.Lfunc_begin0
	.quad	.Ltmp66-.Lfunc_begin0
	.quad	.Ltmp67-.Lfunc_begin0
	.quad	.Ltmp68-.Lfunc_begin0
	.quad	.Ltmp69-.Lfunc_begin0
	.quad	.Ltmp70-.Lfunc_begin0
	.quad	.Ltmp71-.Lfunc_begin0
	.quad	.Ltmp72-.Lfunc_begin0
	.quad	.Ltmp73-.Lfunc_begin0
	.quad	.Ltmp74-.Lfunc_begin0
	.quad	.Ltmp75-.Lfunc_begin0
	.quad	.Ltmp76-.Lfunc_begin0
	.quad	.Ltmp77-.Lfunc_begin0
	.quad	.Ltmp78-.Lfunc_begin0
	.quad	.Ltmp79-.Lfunc_begin0
	.quad	.Ltmp80-.Lfunc_begin0
	.quad	.Ltmp81-.Lfunc_begin0
	.quad	.Ltmp82-.Lfunc_begin0
	.quad	.Ltmp83-.Lfunc_begin0
	.quad	.Ltmp84-.Lfunc_begin0
	.quad	.Ltmp85-.Lfunc_begin0
	.quad	.Ltmp86-.Lfunc_begin0
	.quad	.Ltmp87-.Lfunc_begin0
	.quad	.Ltmp88-.Lfunc_begin0
	.quad	.Ltmp89-.Lfunc_begin0
	.quad	.Ltmp90-.Lfunc_begin0
	.quad	.Ltmp91-.Lfunc_begin0
	.quad	.Ltmp92-.Lfunc_begin0
	.quad	.Ltmp93-.Lfunc_begin0
	.quad	.Ltmp94-.Lfunc_begin0
	.quad	.Ltmp95-.Lfunc_begin0
	.quad	.Ltmp96-.Lfunc_begin0
	.quad	.Ltmp97-.Lfunc_begin0
	.quad	.Ltmp98-.Lfunc_begin0
	.quad	.Ltmp99-.Lfunc_begin0
	.quad	.Ltmp100-.Lfunc_begin0
	.quad	.Ltmp101-.Lfunc_begin0
	.quad	.Ltmp102-.Lfunc_begin0
	.quad	.Ltmp103-.Lfunc_begin0
	.quad	.Ltmp104-.Lfunc_begin0
	.quad	.Ltmp105-.Lfunc_begin0
	.quad	.Ltmp106-.Lfunc_begin0
	.quad	.Ltmp107-.Lfunc_begin0
	.quad	.Ltmp108-.Lfunc_begin0
	.quad	.Ltmp110-.Lfunc_begin0
	.quad	.Ltmp111-.Lfunc_begin0
	.quad	.Ltmp112-.Lfunc_begin0
	.quad	0
	.quad	0
.Ldebug_ranges1:
	.quad	.Ltmp1-.Lfunc_begin0
	.quad	.Ltmp2-.Lfunc_begin0
	;; [unrolled: 1-line block ×62, first 2 shown]
	.quad	0
	.quad	0
.Ldebug_ranges2:
	.quad	.Ltmp3-.Lfunc_begin0
	.quad	.Ltmp4-.Lfunc_begin0
	;; [unrolled: 1-line block ×46, first 2 shown]
	.quad	0
	.quad	0
.Ldebug_ranges3:
	.quad	.Ltmp3-.Lfunc_begin0
	.quad	.Ltmp4-.Lfunc_begin0
	;; [unrolled: 1-line block ×46, first 2 shown]
	.quad	0
	.quad	0
	.section	.debug_str,"MS",@progbits,1
.Linfo_string0:
	.asciz	"triton"                        ; string offset=0
.Linfo_string1:
	.asciz	"attention_fwd.py"              ; string offset=7
.Linfo_string2:
	.asciz	"/root/src/amdgpu-assembly/repos/triton-lang__triton-aot" ; string offset=24
.Linfo_string3:
	.asciz	"attention_fwd_kernel"          ; string offset=80
	.section	".note.GNU-stack","",@progbits
	.amdgpu_metadata
---
amdhsa.kernels:
  - .args:
      - .address_space:  global
        .offset:         0
        .size:           8
        .value_kind:     global_buffer
      - .address_space:  global
        .offset:         8
        .size:           8
        .value_kind:     global_buffer
      - .address_space:  global
        .offset:         16
        .size:           8
        .value_kind:     global_buffer
      - .address_space:  global
        .offset:         24
        .size:           8
        .value_kind:     global_buffer
      - .offset:         32
        .size:           4
        .value_kind:     by_value
      - .offset:         36
        .size:           4
        .value_kind:     by_value
      - .offset:         40
        .size:           4
        .value_kind:     by_value
      - .offset:         44
        .size:           4
        .value_kind:     by_value
      - .offset:         48
        .size:           4
        .value_kind:     by_value
      - .offset:         52
        .size:           4
        .value_kind:     by_value
      - .offset:         56
        .size:           4
        .value_kind:     by_value
      - .offset:         60
        .size:           4
        .value_kind:     by_value
      - .offset:         64
        .size:           4
        .value_kind:     by_value
      - .offset:         68
        .size:           4
        .value_kind:     by_value
      - .address_space:  global
        .offset:         72
        .size:           8
        .value_kind:     global_buffer
      - .address_space:  global
        .offset:         80
        .size:           8
        .value_kind:     global_buffer
    .group_segment_fixed_size: 0
    .kernarg_segment_align: 8
    .kernarg_segment_size: 88
    .max_flat_workgroup_size: 128
    .name:           attention_fwd_kernel
    .private_segment_fixed_size: 252
    .sgpr_count:     107
    .sgpr_spill_count: 10
    .symbol:         attention_fwd_kernel.kd
    .uniform_work_group_size: 1
    .uses_dynamic_stack: false
    .vgpr_count:     256
    .vgpr_spill_count: 62
    .wavefront_size: 32
    .workgroup_processor_mode: 1
amdhsa.target:   amdgcn-amd-amdhsa--gfx1100
amdhsa.version:
  - 1
  - 2
...

	.end_amdgpu_metadata
	.section	.debug_line,"",@progbits
.Lline_table_start0:
